;; amdgpu-corpus repo=ROCm/aiter kind=harvested arch=n/a opt=n/a

/root/src/amdgpu-assembly/repos/ROCm__aiter/hsa/gfx942/fmoe_2stages/fmoe_stage1_bf16_pertokenFp8_blockscale_g1u1_80x128_2tg_pf2.co:	file format elf64-amdgpu

Disassembly of section .text:

0000000000002a00 <_ZN5aiter59fmoe_stage1_bf16_pertokenFp8_blockscale_g1u1_80x128_2tg_pf2E>:
	s_and_b32 s1, s1, 0xffff                                   // 000000002A00: 8601FF01 0000FFFF
	s_load_dwordx2 s[8:9], s[0:1], 0x0                         // 000000002A08: C0060200 00000000
	s_load_dwordx2 s[20:21], s[0:1], 0x10                      // 000000002A10: C0060500 00000010
	s_load_dwordx2 s[24:25], s[0:1], 0x20                      // 000000002A18: C0060600 00000020
	s_load_dwordx2 s[48:49], s[0:1], 0x30                      // 000000002A20: C0060C00 00000030
	s_load_dwordx2 s[28:29], s[0:1], 0x40                      // 000000002A28: C0060700 00000040
	s_load_dwordx2 s[32:33], s[0:1], 0x50                      // 000000002A30: C0060800 00000050
	s_load_dwordx2 s[36:37], s[0:1], 0x60                      // 000000002A38: C0060900 00000060
	s_load_dwordx2 s[12:13], s[0:1], 0x70                      // 000000002A40: C0060300 00000070
	s_load_dwordx2 s[44:45], s[0:1], 0x80                      // 000000002A48: C0060B00 00000080
	s_mov_b32 s89, 0                                           // 000000002A50: BED90080
	s_load_dword s64, s[0:1], 0x90                             // 000000002A54: C0021000 00000090
	s_load_dword s65, s[0:1], 0xa0                             // 000000002A5C: C0021040 000000A0
	s_load_dword s66, s[0:1], 0xb0                             // 000000002A64: C0021080 000000B0
	s_load_dword s67, s[0:1], 0xc0                             // 000000002A6C: C00210C0 000000C0
	s_load_dword s68, s[0:1], 0xd0                             // 000000002A74: C0021100 000000D0
	s_load_dword s69, s[0:1], 0xe0                             // 000000002A7C: C0021140 000000E0
	s_load_dword s71, s[0:1], 0xf0                             // 000000002A84: C00211C0 000000F0
	s_load_dword s72, s[0:1], 0x100                            // 000000002A8C: C0021200 00000100
	s_load_dword s74, s[0:1], 0x110                            // 000000002A94: C0021280 00000110
	s_load_dword s76, s[0:1], 0x120                            // 000000002A9C: C0021300 00000120
	s_load_dword s56, s[0:1], 0x130                            // 000000002AA4: C0020E00 00000130
	s_load_dword s88, s[0:1], 0x140                            // 000000002AAC: C0021600 00000140
	s_load_dword s89, s[0:1], 0x150                            // 000000002AB4: C0021640 00000150
	v_lshrrev_b32_e32 v1, 10, v0                               // 000000002ABC: 2002008A
	v_lshrrev_b32_e32 v2, 10, v1                               // 000000002AC0: 2004028A
	v_and_b32_e32 v2, 0x3ff, v2                                // 000000002AC4: 260404FF 000003FF
	v_and_b32_e32 v1, 0x3ff, v1                                // 000000002ACC: 260202FF 000003FF
	v_and_b32_e32 v0, 0x3ff, v0                                // 000000002AD4: 260000FF 000003FF
	v_lshrrev_b32_e32 v3, 6, v0                                // 000000002ADC: 20060086
	v_and_b32_e32 v0, 63, v0                                   // 000000002AE0: 260000BF
	s_mov_b32 s2, s2                                           // 000000002AE4: BE820002
	s_mov_b32 s3, s3                                           // 000000002AE8: BE830003
	s_mov_b32 s4, s4                                           // 000000002AEC: BE840004
	v_readfirstlane_b32 s7, v3                                 // 000000002AF0: 7E0E0503
	s_waitcnt lgkmcnt(0)                                       // 000000002AF4: BF8CC07F
	s_and_b32 s49, s49, 0xffff                                 // 000000002AF8: 8631FF31 0000FFFF
	s_load_dword s48, s[48:49], 0x0                            // 000000002B00: C0020C18 00000000
	s_and_b32 s45, s45, 0xffff                                 // 000000002B08: 862DFF2D 0000FFFF
	s_and_b32 s9, s9, 0xffff                                   // 000000002B10: 8609FF09 0000FFFF
	s_mul_i32 s60, s66, s68                                    // 000000002B18: 923C4442
	s_mul_i32 s61, s66, 4                                      // 000000002B1C: 923D8442
	s_mov_b32 s22, s60                                         // 000000002B20: BE96003C
	s_mov_b32 s26, -16                                         // 000000002B24: BE9A00D0
	s_mov_b32 s30, s61                                         // 000000002B28: BE9E003D
	s_mov_b32 s14, 0x140                                       // 000000002B2C: BE8E00FF 00000140
	s_mov_b32 s38, -16                                         // 000000002B34: BEA600D0
	s_mov_b32 s10, -16                                         // 000000002B38: BE8A00D0
	s_lshr_b32 s60, s64, 7                                     // 000000002B3C: 8F3C8740
	s_mul_i32 s61, s60, 4                                      // 000000002B40: 923D843C
	s_lshr_b32 s60, s65, 7                                     // 000000002B44: 8F3C8741
	s_add_u32 s60, s60, 1                                      // 000000002B48: 803C813C
	s_mul_i32 s60, s60, s61                                    // 000000002B4C: 923C3D3C
	s_mov_b32 s34, s60                                         // 000000002B50: BEA2003C
	s_mov_b32 s23, 0x20000                                     // 000000002B54: BE9700FF 00020000
	s_mov_b32 s27, 0x20000                                     // 000000002B5C: BE9B00FF 00020000
	s_mov_b32 s31, 0x20000                                     // 000000002B64: BE9F00FF 00020000
	s_mov_b32 s35, 0x20000                                     // 000000002B6C: BEA300FF 00020000
	s_mov_b32 s15, 0x20000                                     // 000000002B74: BE8F00FF 00020000
	s_mov_b32 s39, 0x20000                                     // 000000002B7C: BEA700FF 00020000
	s_mov_b32 s11, 0x20000                                     // 000000002B84: BE8B00FF 00020000
	s_and_b32 s21, s21, 0xffff                                 // 000000002B8C: 8615FF15 0000FFFF
	s_and_b32 s25, s25, 0xffff                                 // 000000002B94: 8619FF19 0000FFFF
	s_and_b32 s29, s29, 0xffff                                 // 000000002B9C: 861DFF1D 0000FFFF
	s_and_b32 s33, s33, 0xffff                                 // 000000002BA4: 8621FF21 0000FFFF
	s_and_b32 s13, s13, 0xffff                                 // 000000002BAC: 860DFF0D 0000FFFF
	s_and_b32 s37, s37, 0xffff                                 // 000000002BB4: 8625FF25 0000FFFF
	s_or_b32 s21, s21, 0x40000                                 // 000000002BBC: 8715FF15 00040000
	s_or_b32 s25, s25, 0x40000                                 // 000000002BC4: 8719FF19 00040000
	s_or_b32 s29, s29, 0x40000                                 // 000000002BCC: 871DFF1D 00040000
	s_or_b32 s33, s33, 0x40000                                 // 000000002BD4: 8721FF21 00040000
	s_or_b32 s13, s13, 0x40000                                 // 000000002BDC: 870DFF0D 00040000
	s_or_b32 s37, s37, 0x40000                                 // 000000002BE4: 8725FF25 00040000
	v_accvgpr_write_b32 a111, 0                                // 000000002BEC: D3D9406F 18000080
	v_mov_b32_e32 v139, 0                                      // 000000002BF4: 7F160280
	s_waitcnt lgkmcnt(0)                                       // 000000002BF8: BF8CC07F
	s_mul_i32 s60, s3, 0x50                                    // 000000002BFC: 923CFF03 00000050
	s_cmp_lt_i32 s60, s48                                      // 000000002C04: BF04303C
	s_cbranch_scc0 label_21F8                                  // 000000002C08: BF842172
	s_mov_b32 s80, 0                                           // 000000002C0C: BED00080
	s_lshr_b32 s81, s64, s88                                   // 000000002C10: 8F515840
	s_mul_i32 s60, s3, 4                                       // 000000002C14: 923C8403
	s_add_u32 s44, s60, s44                                    // 000000002C18: 802C2C3C
	s_addc_u32 s45, 0, s45                                     // 000000002C1C: 822D2D80
	s_load_dword s5, s[44:45], 0x0                             // 000000002C20: C0020156 00000000
	s_mul_i32 s60, s3, 0x50                                    // 000000002C28: 923CFF03 00000050
	s_mul_i32 s60, 4, s60                                      // 000000002C30: 923C3C84
	s_add_u32 s12, s60, s12                                    // 000000002C34: 800C0C3C
	s_addc_u32 s13, 0, s13                                     // 000000002C38: 820D0D80
	v_and_b32_e32 v4, 15, v0                                   // 000000002C3C: 2608008F
	v_lshlrev_b32_e32 v4, 2, v4                                // 000000002C40: 24080882
	buffer_load_dword v28, v4, s[12:15], 0 offen               // 000000002C44: E0501000 80031C04
	v_add_u32_e32 v4, 64, v4                                   // 000000002C4C: 680808C0
	buffer_load_dword v29, v4, s[12:15], 0 offen               // 000000002C50: E0501000 80031D04
	v_add_u32_e32 v4, 64, v4                                   // 000000002C58: 680808C0
	buffer_load_dword v30, v4, s[12:15], 0 offen               // 000000002C5C: E0501000 80031E04
	v_add_u32_e32 v4, 64, v4                                   // 000000002C64: 680808C0
	buffer_load_dword v31, v4, s[12:15], 0 offen               // 000000002C68: E0501000 80031F04
	v_add_u32_e32 v4, 64, v4                                   // 000000002C70: 680808C0
	buffer_load_dword v32, v4, s[12:15], 0 offen               // 000000002C74: E0501000 80032004
	v_add_u32_e32 v4, 64, v4                                   // 000000002C7C: 680808C0
	s_mul_i32 s60, 4, s7                                       // 000000002C80: 923C0784
	v_lshlrev_b32_e32 v4, 4, v0                                // 000000002C84: 24080084
	v_add_u32_e32 v4, s60, v4                                  // 000000002C88: 6808083C
	buffer_load_dword v3, v4, s[12:15], 0 offen                // 000000002C8C: E0501000 80030304
	v_mov_b32_e32 v60, 0                                       // 000000002C94: 7E780280
	v_mov_b32_e32 v100, 0                                      // 000000002C98: 7EC80280
	v_mov_b32_e32 v61, 0                                       // 000000002C9C: 7E7A0280
	v_mov_b32_e32 v101, 0                                      // 000000002CA0: 7ECA0280
	v_mov_b32_e32 v62, 0                                       // 000000002CA4: 7E7C0280
	v_mov_b32_e32 v102, 0                                      // 000000002CA8: 7ECC0280
	v_mov_b32_e32 v63, 0                                       // 000000002CAC: 7E7E0280
	v_mov_b32_e32 v103, 0                                      // 000000002CB0: 7ECE0280
	v_mov_b32_e32 v64, 0                                       // 000000002CB4: 7E800280
	v_mov_b32_e32 v104, 0                                      // 000000002CB8: 7ED00280
	v_mov_b32_e32 v65, 0                                       // 000000002CBC: 7E820280
	v_mov_b32_e32 v105, 0                                      // 000000002CC0: 7ED20280
	v_mov_b32_e32 v66, 0                                       // 000000002CC4: 7E840280
	v_mov_b32_e32 v106, 0                                      // 000000002CC8: 7ED40280
	v_mov_b32_e32 v67, 0                                       // 000000002CCC: 7E860280
	v_mov_b32_e32 v107, 0                                      // 000000002CD0: 7ED60280
	v_mov_b32_e32 v68, 0                                       // 000000002CD4: 7E880280
	v_mov_b32_e32 v108, 0                                      // 000000002CD8: 7ED80280
	v_mov_b32_e32 v69, 0                                       // 000000002CDC: 7E8A0280
	v_mov_b32_e32 v109, 0                                      // 000000002CE0: 7EDA0280
	v_mov_b32_e32 v70, 0                                       // 000000002CE4: 7E8C0280
	v_mov_b32_e32 v110, 0                                      // 000000002CE8: 7EDC0280
	v_mov_b32_e32 v71, 0                                       // 000000002CEC: 7E8E0280
	v_mov_b32_e32 v111, 0                                      // 000000002CF0: 7EDE0280
	v_mov_b32_e32 v72, 0                                       // 000000002CF4: 7E900280
	v_mov_b32_e32 v112, 0                                      // 000000002CF8: 7EE00280
	v_mov_b32_e32 v73, 0                                       // 000000002CFC: 7E920280
	v_mov_b32_e32 v113, 0                                      // 000000002D00: 7EE20280
	v_mov_b32_e32 v74, 0                                       // 000000002D04: 7E940280
	v_mov_b32_e32 v114, 0                                      // 000000002D08: 7EE40280
	v_mov_b32_e32 v75, 0                                       // 000000002D0C: 7E960280
	v_mov_b32_e32 v115, 0                                      // 000000002D10: 7EE60280
	v_mov_b32_e32 v76, 0                                       // 000000002D14: 7E980280
	v_mov_b32_e32 v116, 0                                      // 000000002D18: 7EE80280
	v_mov_b32_e32 v77, 0                                       // 000000002D1C: 7E9A0280
	v_mov_b32_e32 v117, 0                                      // 000000002D20: 7EEA0280
	v_mov_b32_e32 v78, 0                                       // 000000002D24: 7E9C0280
	v_mov_b32_e32 v118, 0                                      // 000000002D28: 7EEC0280
	v_mov_b32_e32 v79, 0                                       // 000000002D2C: 7E9E0280
	v_mov_b32_e32 v119, 0                                      // 000000002D30: 7EEE0280
	v_mov_b32_e32 v80, 0                                       // 000000002D34: 7EA00280
	v_mov_b32_e32 v120, 0                                      // 000000002D38: 7EF00280
	v_mov_b32_e32 v81, 0                                       // 000000002D3C: 7EA20280
	v_mov_b32_e32 v121, 0                                      // 000000002D40: 7EF20280
	v_mov_b32_e32 v82, 0                                       // 000000002D44: 7EA40280
	v_mov_b32_e32 v122, 0                                      // 000000002D48: 7EF40280
	v_mov_b32_e32 v83, 0                                       // 000000002D4C: 7EA60280
	v_mov_b32_e32 v123, 0                                      // 000000002D50: 7EF60280
	v_mov_b32_e32 v84, 0                                       // 000000002D54: 7EA80280
	v_mov_b32_e32 v124, 0                                      // 000000002D58: 7EF80280
	v_mov_b32_e32 v85, 0                                       // 000000002D5C: 7EAA0280
	v_mov_b32_e32 v125, 0                                      // 000000002D60: 7EFA0280
	v_mov_b32_e32 v86, 0                                       // 000000002D64: 7EAC0280
	v_mov_b32_e32 v126, 0                                      // 000000002D68: 7EFC0280
	v_mov_b32_e32 v87, 0                                       // 000000002D6C: 7EAE0280
	v_mov_b32_e32 v127, 0                                      // 000000002D70: 7EFE0280
	v_mov_b32_e32 v88, 0                                       // 000000002D74: 7EB00280
	v_mov_b32_e32 v128, 0                                      // 000000002D78: 7F000280
	v_mov_b32_e32 v89, 0                                       // 000000002D7C: 7EB20280
	v_mov_b32_e32 v129, 0                                      // 000000002D80: 7F020280
	v_mov_b32_e32 v90, 0                                       // 000000002D84: 7EB40280
	v_mov_b32_e32 v130, 0                                      // 000000002D88: 7F040280
	v_mov_b32_e32 v91, 0                                       // 000000002D8C: 7EB60280
	v_mov_b32_e32 v131, 0                                      // 000000002D90: 7F060280
	v_mov_b32_e32 v92, 0                                       // 000000002D94: 7EB80280
	v_mov_b32_e32 v132, 0                                      // 000000002D98: 7F080280
	v_mov_b32_e32 v93, 0                                       // 000000002D9C: 7EBA0280
	v_mov_b32_e32 v133, 0                                      // 000000002DA0: 7F0A0280
	v_mov_b32_e32 v94, 0                                       // 000000002DA4: 7EBC0280
	v_mov_b32_e32 v134, 0                                      // 000000002DA8: 7F0C0280
	v_mov_b32_e32 v95, 0                                       // 000000002DAC: 7EBE0280
	v_mov_b32_e32 v135, 0                                      // 000000002DB0: 7F0E0280
	v_mov_b32_e32 v96, 0                                       // 000000002DB4: 7EC00280
	v_mov_b32_e32 v136, 0                                      // 000000002DB8: 7F100280
	v_mov_b32_e32 v97, 0                                       // 000000002DBC: 7EC20280
	v_mov_b32_e32 v137, 0                                      // 000000002DC0: 7F120280
	v_mov_b32_e32 v98, 0                                       // 000000002DC4: 7EC40280
	v_mov_b32_e32 v138, 0                                      // 000000002DC8: 7F140280
	v_mov_b32_e32 v99, 0                                       // 000000002DCC: 7EC60280
	v_mov_b32_e32 v139, 0                                      // 000000002DD0: 7F160280
	s_mul_i32 s60, s2, 0x80                                    // 000000002DD4: 923CFF02 00000080
	s_cmp_eq_u32 s88, 0                                        // 000000002DDC: BF068058
	s_cselect_b32 s61, 1, 4                                    // 000000002DE0: 853D8481
	s_mul_i32 s60, s60, s61                                    // 000000002DE4: 923C3D3C
	s_mov_b32 s90, s8                                          // 000000002DE8: BEDA0008
	s_mov_b32 s91, s9                                          // 000000002DEC: BEDB0009
	s_add_u32 s8, s60, s8                                      // 000000002DF0: 8008083C
	s_addc_u32 s9, 0, s9                                       // 000000002DF4: 82090980
	v_lshrrev_b32_e32 v4, 4, v0                                // 000000002DF8: 20080084
	v_mul_lo_u32 v20, 34, v4                                   // 000000002DFC: D2850014 000208A2
	v_and_b32_e32 v4, 15, v0                                   // 000000002E04: 2608008F
	v_mul_lo_u32 v5, 2, v4                                     // 000000002E08: D2850005 00020882
	v_add_u32_e32 v20, v5, v20                                 // 000000002E10: 68282905
	s_mul_i32 s60, s7, 0x88                                    // 000000002E14: 923CFF07 00000088
	v_add_u32_e32 v20, s60, v20                                // 000000002E1C: 6828283C
	v_lshlrev_b32_e32 v20, 2, v20                              // 000000002E20: 24282882
	v_and_b32_e32 v4, 31, v0                                   // 000000002E24: 2608009F
	v_lshrrev_b32_e32 v4, 1, v4                                // 000000002E28: 20080881
	v_mul_lo_u32 v21, 34, v4                                   // 000000002E2C: D2850015 000208A2
	v_lshrrev_b32_e32 v4, 5, v0                                // 000000002E34: 20080085
	v_mul_lo_u32 v4, 8, v4                                     // 000000002E38: D2850004 00020888
	v_add_u32_e32 v21, v21, v4                                 // 000000002E40: 682A0915
	v_and_b32_e32 v5, 1, v0                                    // 000000002E44: 260A0081
	v_add_u32_e32 v21, v5, v21                                 // 000000002E48: 682A2B05
	s_mul_i32 s60, s7, 2                                       // 000000002E4C: 923C8207
	v_add_u32_e32 v21, s60, v21                                // 000000002E50: 682A2A3C
	v_lshlrev_b32_e32 v21, 2, v21                              // 000000002E54: 242A2A82
	s_mul_i32 s60, s7, 0xa20                                   // 000000002E58: 923CFF07 00000A20
	s_add_u32 s48, 0, s60                                      // 000000002E60: 80303C80
	s_add_u32 s49, 0x2880, s48                                 // 000000002E64: 803130FF 00002880
	v_lshrrev_b32_e32 v4, 4, v0                                // 000000002E6C: 20080084
	v_lshlrev_b32_e32 v5, 2, v4                                // 000000002E70: 240A0882
	v_and_b32_e32 v4, 15, v0                                   // 000000002E74: 2608008F
	v_lshrrev_b32_e32 v6, 2, v4                                // 000000002E78: 200C0882
	v_lshlrev_b32_e32 v6, 5, v6                                // 000000002E7C: 240C0C85
	v_add_u32_e32 v5, v6, v5                                   // 000000002E80: 680A0B06
	v_and_b32_e32 v4, 3, v0                                    // 000000002E84: 26080083
	v_mul_u32_u24_e32 v6, 0x288, v4                            // 000000002E88: 100C08FF 00000288
	v_add_u32_e32 v5, v6, v5                                   // 000000002E90: 680A0B06
	v_lshlrev_b32_e32 v2, 2, v5                                // 000000002E94: 24040A82
	s_waitcnt lgkmcnt(0)                                       // 000000002E98: BF8CC07F
	s_mul_i32 s60, s2, 0x80                                    // 000000002E9C: 923CFF02 00000080
	s_mul_i32 s60, s60, s69                                    // 000000002EA4: 923C453C
	s_mul_i32 s61, s5, s72                                     // 000000002EA8: 923D4805
	s_add_u32 s60, s61, s60                                    // 000000002EAC: 803C3C3D
	s_add_u32 s24, s60, s24                                    // 000000002EB0: 8018183C
	s_addc_u32 s25, 0, s25                                     // 000000002EB4: 82191980
	s_lshr_b32 s60, s64, s88                                   // 000000002EB8: 8F3C5840
	s_mul_i32 s60, s4, s60                                     // 000000002EBC: 923C3C04
	s_lshr_b32 s60, s60, 7                                     // 000000002EC0: 8F3C873C
	s_mul_i32 s60, s60, 0x800                                  // 000000002EC4: 923CFF3C 00000800
	s_add_u32 s24, s60, s24                                    // 000000002ECC: 8018183C
	s_addc_u32 s25, 0, s25                                     // 000000002ED0: 82191980
	s_lshr_b32 s60, s69, s88                                   // 000000002ED4: 8F3C5845
	s_mul_i32 s60, s4, s60                                     // 000000002ED8: 923C3C04
	s_add_u32 s20, s60, s20                                    // 000000002EDC: 8014143C
	s_addc_u32 s21, 0, s21                                     // 000000002EE0: 82151580
	s_mul_i32 s60, s7, 16                                      // 000000002EE4: 923C9007
	s_mul_i32 s60, s60, s69                                    // 000000002EE8: 923C453C
	v_lshlrev_b32_e32 v58, 4, v0                               // 000000002EEC: 24740084
	v_add_u32_e32 v58, s60, v58                                // 000000002EF0: 6874743C
	s_mul_i32 s60, 64, s69                                     // 000000002EF4: 923C45C0
	v_add_u32_e32 v59, s60, v58                                // 000000002EF8: 6876743C
	s_mov_b32 s84, s24                                         // 000000002EFC: BED40018
	s_mov_b32 s85, s25                                         // 000000002F00: BED50019
	s_mov_b32 s86, s26                                         // 000000002F04: BED6001A
	s_mov_b32 s87, s27                                         // 000000002F08: BED7001B
	s_mul_i32 s60, s69, s65                                    // 000000002F0C: 923C4145
	s_add_u32 s84, s60, s84                                    // 000000002F10: 8054543C
	s_addc_u32 s85, 0, s85                                     // 000000002F14: 82555580
	s_lshr_b32 s60, s64, 7                                     // 000000002F18: 8F3C8740
	s_mul_i32 s61, s60, 4                                      // 000000002F1C: 923D843C
	v_and_b32_e32 v22, 15, v0                                  // 000000002F20: 262C008F
	v_mul_lo_u32 v22, v22, s61                                 // 000000002F24: D2850016 00007B16
	s_lshr_b32 s60, s65, 7                                     // 000000002F2C: 8F3C8741
	s_mul_i32 s60, s60, s61                                    // 000000002F30: 923C3D3C
	v_add_u32_e64 v23, v22, s60                                // 000000002F34: D1340017 00007916
	s_mul_i32 s60, s2, 1                                       // 000000002F3C: 923C8102
	s_mul_i32 s60, s60, s61                                    // 000000002F40: 923C3D3C
	s_mul_i32 s61, s5, s74                                     // 000000002F44: 923D4A05
	s_add_u32 s61, s61, s60                                    // 000000002F48: 803D3C3D
	s_add_u32 s32, s61, s32                                    // 000000002F4C: 8020203D
	s_addc_u32 s33, 0, s33                                     // 000000002F50: 82212180
	s_lshr_b32 s60, s64, 7                                     // 000000002F54: 8F3C8740
	s_lshr_b32 s60, s60, s88                                   // 000000002F58: 8F3C583C
	s_mul_i32 s60, s4, s60                                     // 000000002F5C: 923C3C04
	s_mul_i32 s61, s60, 4                                      // 000000002F60: 923D843C
	s_add_u32 s32, s61, s32                                    // 000000002F64: 8020203D
	s_addc_u32 s33, 0, s33                                     // 000000002F68: 82212180
	s_lshl_b32 s62, s66, 2                                     // 000000002F6C: 8E3E8242
	s_mul_i32 s62, s60, s62                                    // 000000002F70: 923E3E3C
	s_add_u32 s28, s62, s28                                    // 000000002F74: 801C1C3E
	s_addc_u32 s29, 0, s29                                     // 000000002F78: 821D1D80
	s_mov_b32 s4, 4                                            // 000000002F7C: BE840084
	s_mov_b32 s57, 0x80                                        // 000000002F80: BEB900FF 00000080
	s_mov_b32 s58, 0x800                                       // 000000002F88: BEBA00FF 00000800
	s_mov_b32 s83, s58                                         // 000000002F90: BED3003A
	s_mov_b32 s52, 0x7060302                                   // 000000002F94: BEB400FF 07060302
	s_mov_b32 s53, 0x400                                       // 000000002F9C: BEB500FF 00000400
	s_mov_b32 s54, 0x40100                                     // 000000002FA4: BEB600FF 00040100
	s_mov_b32 s55, 0x4020100                                   // 000000002FAC: BEB700FF 04020100
	s_mov_b32 s6, 0x3fb8aa3b                                   // 000000002FB4: BE8600FF 3FB8AA3B
	s_mov_b32 s78, 0xbd92220c                                  // 000000002FBC: BECE00FF BD92220C
	s_mov_b32 s79, 0xbd92220c                                  // 000000002FC4: BECF00FF BD92220C
	s_mov_b32 m0, s48                                          // 000000002FCC: BEFC0030
	v_mov_b32_e32 v1, 0xbfcc4231                               // 000000002FD0: 7E0202FF BFCC4231
	v_mov_b32_e32 v17, 0xffff0000                              // 000000002FD8: 7E2202FF FFFF0000
	v_mov_b32_e32 v18, 0x7fff0000                              // 000000002FE0: 7E2402FF 7FFF0000
	v_mov_b32_e32 v19, 0x7fff                                  // 000000002FE8: 7E2602FF 00007FFF
	s_waitcnt vmcnt(0) expcnt(0) lgkmcnt(0)                    // 000000002FF0: BF8C0000
	v_lshrrev_b32_e32 v4, 5, v0                                // 000000002FF4: 20080085
	v_xor_b32_e32 v5, 1, v4                                    // 000000002FF8: 2A0A0881
	v_readlane_b32 s82, v3, 0                                  // 000000002FFC: D2890052 00010103
	s_and_b32 s82, s82, 0xffffff                               // 000000003004: 8652FF52 00FFFFFF
	v_mul_lo_u32 v6, v5, s82                                   // 00000000300C: D2850006 0000A505
	v_readlane_b32 s82, v3, 1                                  // 000000003014: D2890052 00010303
	s_and_b32 s82, s82, 0xffffff                               // 00000000301C: 8652FF52 00FFFFFF
	v_mul_lo_u32 v7, v4, s82                                   // 000000003024: D2850007 0000A504
	v_add_u32_e32 v48, v6, v7                                  // 00000000302C: 68600F06
	v_mul_lo_u32 v48, v48, s68                                 // 000000003030: D2850030 00008930
	v_readlane_b32 s82, v3, 2                                  // 000000003038: D2890052 00010503
	s_and_b32 s82, s82, 0xffffff                               // 000000003040: 8652FF52 00FFFFFF
	v_mul_lo_u32 v6, v5, s82                                   // 000000003048: D2850006 0000A505
	v_readlane_b32 s82, v3, 3                                  // 000000003050: D2890052 00010703
	s_and_b32 s82, s82, 0xffffff                               // 000000003058: 8652FF52 00FFFFFF
	v_mul_lo_u32 v7, v4, s82                                   // 000000003060: D2850007 0000A504
	v_add_u32_e32 v49, v6, v7                                  // 000000003068: 68620F06
	v_mul_lo_u32 v49, v49, s68                                 // 00000000306C: D2850031 00008931
	v_readlane_b32 s82, v3, 4                                  // 000000003074: D2890052 00010903
	s_and_b32 s82, s82, 0xffffff                               // 00000000307C: 8652FF52 00FFFFFF
	v_mul_lo_u32 v6, v5, s82                                   // 000000003084: D2850006 0000A505
	v_readlane_b32 s82, v3, 5                                  // 00000000308C: D2890052 00010B03
	s_and_b32 s82, s82, 0xffffff                               // 000000003094: 8652FF52 00FFFFFF
	v_mul_lo_u32 v7, v4, s82                                   // 00000000309C: D2850007 0000A504
	v_add_u32_e32 v50, v6, v7                                  // 0000000030A4: 68640F06
	v_mul_lo_u32 v50, v50, s68                                 // 0000000030A8: D2850032 00008932
	v_readlane_b32 s82, v3, 6                                  // 0000000030B0: D2890052 00010D03
	s_and_b32 s82, s82, 0xffffff                               // 0000000030B8: 8652FF52 00FFFFFF
	v_mul_lo_u32 v6, v5, s82                                   // 0000000030C0: D2850006 0000A505
	v_readlane_b32 s82, v3, 7                                  // 0000000030C8: D2890052 00010F03
	s_and_b32 s82, s82, 0xffffff                               // 0000000030D0: 8652FF52 00FFFFFF
	v_mul_lo_u32 v7, v4, s82                                   // 0000000030D8: D2850007 0000A504
	v_add_u32_e32 v51, v6, v7                                  // 0000000030E0: 68660F06
	v_mul_lo_u32 v51, v51, s68                                 // 0000000030E4: D2850033 00008933
	v_readlane_b32 s82, v3, 8                                  // 0000000030EC: D2890052 00011103
	s_and_b32 s82, s82, 0xffffff                               // 0000000030F4: 8652FF52 00FFFFFF
	v_mul_lo_u32 v6, v5, s82                                   // 0000000030FC: D2850006 0000A505
	v_readlane_b32 s82, v3, 9                                  // 000000003104: D2890052 00011303
	s_and_b32 s82, s82, 0xffffff                               // 00000000310C: 8652FF52 00FFFFFF
	v_mul_lo_u32 v7, v4, s82                                   // 000000003114: D2850007 0000A504
	v_add_u32_e32 v52, v6, v7                                  // 00000000311C: 68680F06
	v_mul_lo_u32 v52, v52, s68                                 // 000000003120: D2850034 00008934
	v_readlane_b32 s82, v3, 10                                 // 000000003128: D2890052 00011503
	s_and_b32 s82, s82, 0xffffff                               // 000000003130: 8652FF52 00FFFFFF
	v_mul_lo_u32 v6, v5, s82                                   // 000000003138: D2850006 0000A505
	v_readlane_b32 s82, v3, 11                                 // 000000003140: D2890052 00011703
	s_and_b32 s82, s82, 0xffffff                               // 000000003148: 8652FF52 00FFFFFF
	v_mul_lo_u32 v7, v4, s82                                   // 000000003150: D2850007 0000A504
	v_add_u32_e32 v53, v6, v7                                  // 000000003158: 686A0F06
	v_mul_lo_u32 v53, v53, s68                                 // 00000000315C: D2850035 00008935
	v_readlane_b32 s82, v3, 12                                 // 000000003164: D2890052 00011903
	s_and_b32 s82, s82, 0xffffff                               // 00000000316C: 8652FF52 00FFFFFF
	v_mul_lo_u32 v6, v5, s82                                   // 000000003174: D2850006 0000A505
	v_readlane_b32 s82, v3, 13                                 // 00000000317C: D2890052 00011B03
	s_and_b32 s82, s82, 0xffffff                               // 000000003184: 8652FF52 00FFFFFF
	v_mul_lo_u32 v7, v4, s82                                   // 00000000318C: D2850007 0000A504
	v_add_u32_e32 v54, v6, v7                                  // 000000003194: 686C0F06
	v_mul_lo_u32 v54, v54, s68                                 // 000000003198: D2850036 00008936
	v_readlane_b32 s82, v3, 14                                 // 0000000031A0: D2890052 00011D03
	s_and_b32 s82, s82, 0xffffff                               // 0000000031A8: 8652FF52 00FFFFFF
	v_mul_lo_u32 v6, v5, s82                                   // 0000000031B0: D2850006 0000A505
	v_readlane_b32 s82, v3, 15                                 // 0000000031B8: D2890052 00011F03
	s_and_b32 s82, s82, 0xffffff                               // 0000000031C0: 8652FF52 00FFFFFF
	v_mul_lo_u32 v7, v4, s82                                   // 0000000031C8: D2850007 0000A504
	v_add_u32_e32 v55, v6, v7                                  // 0000000031D0: 686E0F06
	v_mul_lo_u32 v55, v55, s68                                 // 0000000031D4: D2850037 00008937
	v_readlane_b32 s82, v3, 16                                 // 0000000031DC: D2890052 00012103
	s_and_b32 s82, s82, 0xffffff                               // 0000000031E4: 8652FF52 00FFFFFF
	v_mul_lo_u32 v6, v5, s82                                   // 0000000031EC: D2850006 0000A505
	v_readlane_b32 s82, v3, 17                                 // 0000000031F4: D2890052 00012303
	s_and_b32 s82, s82, 0xffffff                               // 0000000031FC: 8652FF52 00FFFFFF
	v_mul_lo_u32 v7, v4, s82                                   // 000000003204: D2850007 0000A504
	v_add_u32_e32 v56, v6, v7                                  // 00000000320C: 68700F06
	v_mul_lo_u32 v56, v56, s68                                 // 000000003210: D2850038 00008938
	v_readlane_b32 s82, v3, 18                                 // 000000003218: D2890052 00012503
	s_and_b32 s82, s82, 0xffffff                               // 000000003220: 8652FF52 00FFFFFF
	v_mul_lo_u32 v6, v5, s82                                   // 000000003228: D2850006 0000A505
	v_readlane_b32 s82, v3, 19                                 // 000000003230: D2890052 00012703
	s_and_b32 s82, s82, 0xffffff                               // 000000003238: 8652FF52 00FFFFFF
	v_mul_lo_u32 v7, v4, s82                                   // 000000003240: D2850007 0000A504
	v_add_u32_e32 v57, v6, v7                                  // 000000003248: 68720F06
	v_mul_lo_u32 v57, v57, s68                                 // 00000000324C: D2850039 00008939
	v_and_b32_e32 v4, 31, v0                                   // 000000003254: 2608009F
	v_lshlrev_b32_e32 v4, 2, v4                                // 000000003258: 24080882
	v_add_u32_e32 v48, v48, v4                                 // 00000000325C: 68600930
	v_add_u32_e32 v49, v49, v4                                 // 000000003260: 68620931
	v_add_u32_e32 v50, v50, v4                                 // 000000003264: 68640932
	;; [unrolled: 1-line block ×3, first 2 shown]
	v_add_u32_e32 v52, v52, v4                                 // 00000000326C: 68680934
	v_add_u32_e32 v53, v53, v4                                 // 000000003270: 686A0935
	v_add_u32_e32 v54, v54, v4                                 // 000000003274: 686C0936
	v_add_u32_e32 v55, v55, v4                                 // 000000003278: 686E0937
	v_add_u32_e32 v56, v56, v4                                 // 00000000327C: 68700938
	v_add_u32_e32 v57, v57, v4                                 // 000000003280: 68720939
	v_and_b32_e32 v28, 0xffffff, v28                           // 000000003284: 263838FF 00FFFFFF
	v_lshlrev_b32_e32 v28, 2, v28                              // 00000000328C: 24383882
	v_and_b32_e32 v29, 0xffffff, v29                           // 000000003290: 263A3AFF 00FFFFFF
	v_lshlrev_b32_e32 v29, 2, v29                              // 000000003298: 243A3A82
	v_and_b32_e32 v30, 0xffffff, v30                           // 00000000329C: 263C3CFF 00FFFFFF
	v_lshlrev_b32_e32 v30, 2, v30                              // 0000000032A4: 243C3C82
	v_and_b32_e32 v31, 0xffffff, v31                           // 0000000032A8: 263E3EFF 00FFFFFF
	v_lshlrev_b32_e32 v31, 2, v31                              // 0000000032B0: 243E3E82
	v_and_b32_e32 v32, 0xffffff, v32                           // 0000000032B4: 264040FF 00FFFFFF
	v_lshlrev_b32_e32 v32, 2, v32                              // 0000000032BC: 24404082
	s_lshl_b32 s3, s66, 2                                      // 0000000032C0: 8E038242
	buffer_load_dword v48, s[20:23], 0 offen lds               // 0000000032C4: E0511000 80050030
	s_add_u32 m0, 0x100, s48                                   // 0000000032CC: 807C30FF 00000100
	buffer_load_dword v49, s[20:23], 0 offen lds               // 0000000032D4: E0511000 80050031
	s_add_u32 m0, 0x200, s48                                   // 0000000032DC: 807C30FF 00000200
	buffer_load_dword v50, s[20:23], 0 offen lds               // 0000000032E4: E0511000 80050032
	s_add_u32 m0, 0x300, s48                                   // 0000000032EC: 807C30FF 00000300
	buffer_load_dword v51, s[20:23], 0 offen lds               // 0000000032F4: E0511000 80050033
	s_add_u32 m0, 0x400, s48                                   // 0000000032FC: 807C30FF 00000400
	buffer_load_dword v52, s[20:23], 0 offen lds               // 000000003304: E0511000 80050034
	s_add_u32 m0, 0x500, s48                                   // 00000000330C: 807C30FF 00000500
	buffer_load_dword v53, s[20:23], 0 offen lds               // 000000003314: E0511000 80050035
	s_add_u32 m0, 0x600, s48                                   // 00000000331C: 807C30FF 00000600
	buffer_load_dword v54, s[20:23], 0 offen lds               // 000000003324: E0511000 80050036
	s_add_u32 m0, 0x700, s48                                   // 00000000332C: 807C30FF 00000700
	buffer_load_dword v55, s[20:23], 0 offen lds               // 000000003334: E0511000 80050037
	s_add_u32 m0, 0x800, s48                                   // 00000000333C: 807C30FF 00000800
	buffer_load_dword v56, s[20:23], 0 offen lds               // 000000003344: E0511000 80050038
	s_add_u32 m0, 0x900, s48                                   // 00000000334C: 807C30FF 00000900
	buffer_load_dword v57, s[20:23], 0 offen lds               // 000000003354: E0511000 80050039
	s_add_u32 m0, 0, s49                                       // 00000000335C: 807C3180
	s_add_u32 s20, s57, s20                                    // 000000003360: 80141439
	s_addc_u32 s21, 0, s21                                     // 000000003364: 82151580
	buffer_load_dword v33, v28, s[28:31], 0 offen              // 000000003368: E0501000 8007211C
	buffer_load_dword v34, v29, s[28:31], 0 offen              // 000000003370: E0501000 8007221D
	buffer_load_dword v35, v30, s[28:31], 0 offen              // 000000003378: E0501000 8007231E
	buffer_load_dword v36, v31, s[28:31], 0 offen              // 000000003380: E0501000 8007241F
	buffer_load_dword v37, v32, s[28:31], 0 offen              // 000000003388: E0501000 80072520
	s_add_u32 s28, s3, s28                                     // 000000003390: 801C1C03
	s_addc_u32 s29, 0, s29                                     // 000000003394: 821D1D80
	buffer_load_dword v48, s[20:23], 0 offen lds               // 000000003398: E0511000 80050030
	s_add_u32 m0, 0x100, s49                                   // 0000000033A0: 807C31FF 00000100
	buffer_load_dword v49, s[20:23], 0 offen lds               // 0000000033A8: E0511000 80050031
	s_add_u32 m0, 0x200, s49                                   // 0000000033B0: 807C31FF 00000200
	buffer_load_dword v50, s[20:23], 0 offen lds               // 0000000033B8: E0511000 80050032
	s_add_u32 m0, 0x300, s49                                   // 0000000033C0: 807C31FF 00000300
	buffer_load_dword v51, s[20:23], 0 offen lds               // 0000000033C8: E0511000 80050033
	s_add_u32 m0, 0x400, s49                                   // 0000000033D0: 807C31FF 00000400
	buffer_load_dword v52, s[20:23], 0 offen lds               // 0000000033D8: E0511000 80050034
	s_add_u32 m0, 0x500, s49                                   // 0000000033E0: 807C31FF 00000500
	buffer_load_dword v53, s[20:23], 0 offen lds               // 0000000033E8: E0511000 80050035
	s_add_u32 m0, 0x600, s49                                   // 0000000033F0: 807C31FF 00000600
	buffer_load_dword v54, s[20:23], 0 offen lds               // 0000000033F8: E0511000 80050036
	s_add_u32 m0, 0x700, s49                                   // 000000003400: 807C31FF 00000700
	buffer_load_dword v55, s[20:23], 0 offen lds               // 000000003408: E0511000 80050037
	s_add_u32 m0, 0x800, s49                                   // 000000003410: 807C31FF 00000800
	buffer_load_dword v56, s[20:23], 0 offen lds               // 000000003418: E0511000 80050038
	;; [unrolled: 2-line block ×3, first 2 shown]
	s_add_u32 m0, 0, s48                                       // 000000003430: 807C3080
	s_add_u32 s20, s57, s20                                    // 000000003434: 80141439
	s_addc_u32 s21, 0, s21                                     // 000000003438: 82151580
	buffer_load_dword v38, v28, s[28:31], 0 offen              // 00000000343C: E0501000 8007261C
	buffer_load_dword v39, v29, s[28:31], 0 offen              // 000000003444: E0501000 8007271D
	buffer_load_dword v40, v30, s[28:31], 0 offen              // 00000000344C: E0501000 8007281E
	buffer_load_dword v41, v31, s[28:31], 0 offen              // 000000003454: E0501000 8007291F
	buffer_load_dword v42, v32, s[28:31], 0 offen              // 00000000345C: E0501000 80072A20
	s_add_u32 s28, s3, s28                                     // 000000003464: 801C1C03
	s_addc_u32 s29, 0, s29                                     // 000000003468: 821D1D80
	buffer_load_dword v24, v22, s[32:35], 0 offen              // 00000000346C: E0501000 80081816
	buffer_load_dwordx4 a[80:83], v58, s[24:27], 0 offen       // 000000003474: E05C1000 8086503A
	buffer_load_dwordx4 a[84:87], v58, s[24:27], 0 offen offset:1024// 00000000347C: E05C1400 8086543A
	buffer_load_dwordx4 a[88:91], v59, s[24:27], 0 offen       // 000000003484: E05C1000 8086583B
	buffer_load_dwordx4 a[92:95], v59, s[24:27], 0 offen offset:1024// 00000000348C: E05C1400 80865C3B
	s_add_u32 s24, s58, s24                                    // 000000003494: 8018183A
	s_addc_u32 s25, 0, s25                                     // 000000003498: 82191980
	s_waitcnt vmcnt(25)                                        // 00000000349C: BF8C4F79
	s_barrier                                                  // 0000000034A0: BF8A0000
	ds_read_b128 a[0:3], v2                                    // 0000000034A4: DBFE0000 00000002
	ds_read_b128 a[4:7], v2 offset:64                          // 0000000034AC: DBFE0040 04000002
	ds_read_b128 a[8:11], v2 offset:512                        // 0000000034B4: DBFE0200 08000002
	ds_read_b128 a[12:15], v2 offset:576                       // 0000000034BC: DBFE0240 0C000002
	ds_read_b128 a[16:19], v2 offset:1024                      // 0000000034C4: DBFE0400 10000002
	ds_read_b128 a[20:23], v2 offset:1088                      // 0000000034CC: DBFE0440 14000002
	ds_read_b128 a[24:27], v2 offset:1536                      // 0000000034D4: DBFE0600 18000002
	ds_read_b128 a[28:31], v2 offset:1600                      // 0000000034DC: DBFE0640 1C000002
	ds_read_b128 a[32:35], v2 offset:2048                      // 0000000034E4: DBFE0800 20000002
	ds_read_b128 a[36:39], v2 offset:2112                      // 0000000034EC: DBFE0840 24000002
	s_cmp_lt_i32 s7, 2                                         // 0000000034F4: BF048207
	s_cbranch_scc0 label_125D                                  // 0000000034F8: BF840F9B

00000000000034fc <label_02BF>:
	s_waitcnt vmcnt(2) lgkmcnt(0)                              // 0000000034FC: BF8C0072
	s_barrier                                                  // 000000003500: BF8A0000
	v_mov_b32_e32 v43, v33                                     // 000000003504: 7E560321
	v_mov_b32_e32 v44, v34                                     // 000000003508: 7E580322
	v_mov_b32_e32 v45, v35                                     // 00000000350C: 7E5A0323
	v_mov_b32_e32 v46, v36                                     // 000000003510: 7E5C0324
	v_mov_b32_e32 v47, v37                                     // 000000003514: 7E5E0325
	v_mul_f32_dpp v4, v24, v43 row_newbcast:0 row_mask:0xf bank_mask:0xf// 000000003518: 0A0856FA FF015018
	v_mfma_f32_16x16x32_fp8_fp8 v[8:11], a[80:81], a[0:1], 0   // 000000003520: D3F30008 1A020150
	buffer_load_dword v27, v23, s[32:35], 0 offen              // 000000003528: E0501000 80081B17
	v_mfma_f32_16x16x32_fp8_fp8 v[8:11], a[82:83], a[2:3], v[8:11]// 000000003530: D3F30008 1C220552
	buffer_load_dwordx4 a[96:99], v58, s[84:87], 0 offen       // 000000003538: E05C1000 8095603A
	v_mfma_f32_16x16x32_fp8_fp8 v[8:11], a[84:85], a[4:5], v[8:11]// 000000003540: D3F30008 1C220954
	v_mfma_f32_16x16x32_fp8_fp8 v[8:11], a[86:87], a[6:7], v[8:11]// 000000003548: D3F30008 1C220D56
	v_mul_f32_dpp v6, v24, v44 row_newbcast:0 row_mask:0xf bank_mask:0xf// 000000003550: 0A0C58FA FF015018
	v_mfma_f32_16x16x32_fp8_fp8 v[12:15], a[80:81], a[8:9], 0  // 000000003558: D3F3000C 1A021150
	v_mfma_f32_16x16x32_fp8_fp8 v[12:15], a[82:83], a[10:11], v[12:15]// 000000003560: D3F3000C 1C321552
	buffer_load_dwordx4 a[100:103], v58, s[84:87], 0 offen offset:1024// 000000003568: E05C1400 8095643A
	v_mfma_f32_16x16x32_fp8_fp8 v[12:15], a[84:85], a[12:13], v[12:15]// 000000003570: D3F3000C 1C321954
	v_mfma_f32_16x16x32_fp8_fp8 v[12:15], a[86:87], a[14:15], v[12:15]// 000000003578: D3F3000C 1C321D56
	v_fma_f32 v60, v8, v4, v60                                 // 000000003580: D1CB003C 04F20908
	v_fma_f32 v61, v9, v4, v61                                 // 000000003588: D1CB003D 04F60909
	v_fma_f32 v62, v10, v4, v62                                // 000000003590: D1CB003E 04FA090A
	v_fma_f32 v63, v11, v4, v63                                // 000000003598: D1CB003F 04FE090B
	v_mul_f32_dpp v4, v24, v45 row_newbcast:0 row_mask:0xf bank_mask:0xf// 0000000035A0: 0A085AFA FF015018
	v_mfma_f32_16x16x32_fp8_fp8 v[8:11], a[80:81], a[16:17], 0 // 0000000035A8: D3F30008 1A022150
	v_mfma_f32_16x16x32_fp8_fp8 v[8:11], a[82:83], a[18:19], v[8:11]// 0000000035B0: D3F30008 1C222552
	buffer_load_dwordx4 a[104:107], v59, s[84:87], 0 offen     // 0000000035B8: E05C1000 8095683B
	v_mfma_f32_16x16x32_fp8_fp8 v[8:11], a[84:85], a[20:21], v[8:11]// 0000000035C0: D3F30008 1C222954
	v_mfma_f32_16x16x32_fp8_fp8 v[8:11], a[86:87], a[22:23], v[8:11]// 0000000035C8: D3F30008 1C222D56
	v_fma_f32 v64, v12, v6, v64                                // 0000000035D0: D1CB0040 05020D0C
	v_fma_f32 v65, v13, v6, v65                                // 0000000035D8: D1CB0041 05060D0D
	v_fma_f32 v66, v14, v6, v66                                // 0000000035E0: D1CB0042 050A0D0E
	v_fma_f32 v67, v15, v6, v67                                // 0000000035E8: D1CB0043 050E0D0F
	v_mul_f32_dpp v6, v24, v46 row_newbcast:0 row_mask:0xf bank_mask:0xf// 0000000035F0: 0A0C5CFA FF015018
	v_mfma_f32_16x16x32_fp8_fp8 v[12:15], a[80:81], a[24:25], 0// 0000000035F8: D3F3000C 1A023150
	v_mfma_f32_16x16x32_fp8_fp8 v[12:15], a[82:83], a[26:27], v[12:15]// 000000003600: D3F3000C 1C323552
	buffer_load_dwordx4 a[108:111], v59, s[84:87], 0 offen offset:1024// 000000003608: E05C1400 80956C3B
	buffer_load_dword v48, s[20:23], 0 offen lds               // 000000003610: E0511000 80050030
	s_add_u32 m0, 0x100, s48                                   // 000000003618: 807C30FF 00000100
	v_mfma_f32_16x16x32_fp8_fp8 v[12:15], a[84:85], a[28:29], v[12:15]// 000000003620: D3F3000C 1C323954
	v_mfma_f32_16x16x32_fp8_fp8 v[12:15], a[86:87], a[30:31], v[12:15]// 000000003628: D3F3000C 1C323D56
	buffer_load_dword v49, s[20:23], 0 offen lds               // 000000003630: E0511000 80050031
	s_add_u32 m0, 0x200, s48                                   // 000000003638: 807C30FF 00000200
	v_fma_f32 v68, v8, v4, v68                                 // 000000003640: D1CB0044 05120908
	v_fma_f32 v69, v9, v4, v69                                 // 000000003648: D1CB0045 05160909
	v_fma_f32 v70, v10, v4, v70                                // 000000003650: D1CB0046 051A090A
	v_fma_f32 v71, v11, v4, v71                                // 000000003658: D1CB0047 051E090B
	v_mul_f32_dpp v4, v24, v47 row_newbcast:0 row_mask:0xf bank_mask:0xf// 000000003660: 0A085EFA FF015018
	v_mfma_f32_16x16x32_fp8_fp8 v[8:11], a[80:81], a[32:33], 0 // 000000003668: D3F30008 1A024150
	v_mfma_f32_16x16x32_fp8_fp8 v[8:11], a[82:83], a[34:35], v[8:11]// 000000003670: D3F30008 1C224552
	buffer_load_dword v50, s[20:23], 0 offen lds               // 000000003678: E0511000 80050032
	s_add_u32 m0, 0x300, s48                                   // 000000003680: 807C30FF 00000300
	v_mfma_f32_16x16x32_fp8_fp8 v[8:11], a[84:85], a[36:37], v[8:11]// 000000003688: D3F30008 1C224954
	v_mfma_f32_16x16x32_fp8_fp8 v[8:11], a[86:87], a[38:39], v[8:11]// 000000003690: D3F30008 1C224D56
	buffer_load_dword v51, s[20:23], 0 offen lds               // 000000003698: E0511000 80050033
	s_add_u32 m0, 0x400, s48                                   // 0000000036A0: 807C30FF 00000400
	v_fma_f32 v72, v12, v6, v72                                // 0000000036A8: D1CB0048 05220D0C
	v_fma_f32 v73, v13, v6, v73                                // 0000000036B0: D1CB0049 05260D0D
	v_fma_f32 v74, v14, v6, v74                                // 0000000036B8: D1CB004A 052A0D0E
	v_fma_f32 v75, v15, v6, v75                                // 0000000036C0: D1CB004B 052E0D0F
	s_waitcnt vmcnt(9)                                         // 0000000036C8: BF8C0F79
	v_mul_f32_dpp v6, v24, v43 row_newbcast:0 row_mask:0xf bank_mask:0xf// 0000000036CC: 0A0C56FA FF015018
	v_mfma_f32_16x16x32_fp8_fp8 v[12:15], a[88:89], a[0:1], 0  // 0000000036D4: D3F3000C 1A020158
	v_mfma_f32_16x16x32_fp8_fp8 v[12:15], a[90:91], a[2:3], v[12:15]// 0000000036DC: D3F3000C 1C32055A
	buffer_load_dword v52, s[20:23], 0 offen lds               // 0000000036E4: E0511000 80050034
	s_add_u32 m0, 0x500, s48                                   // 0000000036EC: 807C30FF 00000500
	v_mfma_f32_16x16x32_fp8_fp8 v[12:15], a[92:93], a[4:5], v[12:15]// 0000000036F4: D3F3000C 1C32095C
	v_mfma_f32_16x16x32_fp8_fp8 v[12:15], a[94:95], a[6:7], v[12:15]// 0000000036FC: D3F3000C 1C320D5E
	buffer_load_dword v53, s[20:23], 0 offen lds               // 000000003704: E0511000 80050035
	s_add_u32 m0, 0x600, s48                                   // 00000000370C: 807C30FF 00000600
	v_fma_f32 v76, v8, v4, v76                                 // 000000003714: D1CB004C 05320908
	v_fma_f32 v77, v9, v4, v77                                 // 00000000371C: D1CB004D 05360909
	v_fma_f32 v78, v10, v4, v78                                // 000000003724: D1CB004E 053A090A
	v_fma_f32 v79, v11, v4, v79                                // 00000000372C: D1CB004F 053E090B
	v_mul_f32_dpp v4, v24, v44 row_newbcast:0 row_mask:0xf bank_mask:0xf// 000000003734: 0A0858FA FF015018
	v_mfma_f32_16x16x32_fp8_fp8 v[8:11], a[88:89], a[8:9], 0   // 00000000373C: D3F30008 1A021158
	v_mfma_f32_16x16x32_fp8_fp8 v[8:11], a[90:91], a[10:11], v[8:11]// 000000003744: D3F30008 1C22155A
	buffer_load_dword v54, s[20:23], 0 offen lds               // 00000000374C: E0511000 80050036
	s_add_u32 m0, 0x700, s48                                   // 000000003754: 807C30FF 00000700
	v_mfma_f32_16x16x32_fp8_fp8 v[8:11], a[92:93], a[12:13], v[8:11]// 00000000375C: D3F30008 1C22195C
	v_mfma_f32_16x16x32_fp8_fp8 v[8:11], a[94:95], a[14:15], v[8:11]// 000000003764: D3F30008 1C221D5E
	buffer_load_dword v55, s[20:23], 0 offen lds               // 00000000376C: E0511000 80050037
	s_add_u32 m0, 0x800, s48                                   // 000000003774: 807C30FF 00000800
	v_fma_f32 v80, v12, v6, v80                                // 00000000377C: D1CB0050 05420D0C
	v_fma_f32 v81, v13, v6, v81                                // 000000003784: D1CB0051 05460D0D
	v_fma_f32 v82, v14, v6, v82                                // 00000000378C: D1CB0052 054A0D0E
	v_fma_f32 v83, v15, v6, v83                                // 000000003794: D1CB0053 054E0D0F
	v_mul_f32_dpp v6, v24, v45 row_newbcast:0 row_mask:0xf bank_mask:0xf// 00000000379C: 0A0C5AFA FF015018
	v_mfma_f32_16x16x32_fp8_fp8 v[12:15], a[88:89], a[16:17], 0// 0000000037A4: D3F3000C 1A022158
	v_mfma_f32_16x16x32_fp8_fp8 v[12:15], a[90:91], a[18:19], v[12:15]// 0000000037AC: D3F3000C 1C32255A
	buffer_load_dword v56, s[20:23], 0 offen lds               // 0000000037B4: E0511000 80050038
	s_add_u32 m0, 0x900, s48                                   // 0000000037BC: 807C30FF 00000900
	v_mfma_f32_16x16x32_fp8_fp8 v[12:15], a[92:93], a[20:21], v[12:15]// 0000000037C4: D3F3000C 1C32295C
	v_mfma_f32_16x16x32_fp8_fp8 v[12:15], a[94:95], a[22:23], v[12:15]// 0000000037CC: D3F3000C 1C322D5E
	buffer_load_dword v57, s[20:23], 0 offen lds               // 0000000037D4: E0511000 80050039
	s_add_u32 m0, 0, s49                                       // 0000000037DC: 807C3180
	v_fma_f32 v84, v8, v4, v84                                 // 0000000037E0: D1CB0054 05520908
	v_fma_f32 v85, v9, v4, v85                                 // 0000000037E8: D1CB0055 05560909
	v_fma_f32 v86, v10, v4, v86                                // 0000000037F0: D1CB0056 055A090A
	v_fma_f32 v87, v11, v4, v87                                // 0000000037F8: D1CB0057 055E090B
	v_mul_f32_dpp v4, v24, v46 row_newbcast:0 row_mask:0xf bank_mask:0xf// 000000003800: 0A085CFA FF015018
	v_mfma_f32_16x16x32_fp8_fp8 v[8:11], a[88:89], a[24:25], 0 // 000000003808: D3F30008 1A023158
	v_mfma_f32_16x16x32_fp8_fp8 v[8:11], a[90:91], a[26:27], v[8:11]// 000000003810: D3F30008 1C22355A
	buffer_load_dword v33, v28, s[28:31], 0 offen              // 000000003818: E0501000 8007211C
	v_mfma_f32_16x16x32_fp8_fp8 v[8:11], a[92:93], a[28:29], v[8:11]// 000000003820: D3F30008 1C22395C
	v_mfma_f32_16x16x32_fp8_fp8 v[8:11], a[94:95], a[30:31], v[8:11]// 000000003828: D3F30008 1C223D5E
	buffer_load_dword v34, v29, s[28:31], 0 offen              // 000000003830: E0501000 8007221D
	v_fma_f32 v88, v12, v6, v88                                // 000000003838: D1CB0058 05620D0C
	v_fma_f32 v89, v13, v6, v89                                // 000000003840: D1CB0059 05660D0D
	v_fma_f32 v90, v14, v6, v90                                // 000000003848: D1CB005A 056A0D0E
	v_fma_f32 v91, v15, v6, v91                                // 000000003850: D1CB005B 056E0D0F
	v_mul_f32_dpp v6, v24, v47 row_newbcast:0 row_mask:0xf bank_mask:0xf// 000000003858: 0A0C5EFA FF015018
	v_mfma_f32_16x16x32_fp8_fp8 v[12:15], a[88:89], a[32:33], 0// 000000003860: D3F3000C 1A024158
	v_mfma_f32_16x16x32_fp8_fp8 v[12:15], a[90:91], a[34:35], v[12:15]// 000000003868: D3F3000C 1C32455A
	buffer_load_dword v35, v30, s[28:31], 0 offen              // 000000003870: E0501000 8007231E
	s_add_u32 s60, 0x80, s80                                   // 000000003878: 803C50FF 00000080
	s_cmp_lt_u32 s60, s81                                      // 000000003880: BF0A513C
	s_cselect_b32 s83, s83, 0                                  // 000000003884: 85538053
	s_cselect_b32 s4, s4, 0                                    // 000000003888: 85048004
	v_mfma_f32_16x16x32_fp8_fp8 v[12:15], a[92:93], a[36:37], v[12:15]// 00000000388C: D3F3000C 1C32495C
	s_add_u32 s32, s4, s32                                     // 000000003894: 80202004
	s_addc_u32 s33, 0, s33                                     // 000000003898: 82212180
	v_mfma_f32_16x16x32_fp8_fp8 v[12:15], a[94:95], a[38:39], v[12:15]// 00000000389C: D3F3000C 1C324D5E
	buffer_load_dword v36, v31, s[28:31], 0 offen              // 0000000038A4: E0501000 8007241F
	v_fma_f32 v92, v8, v4, v92                                 // 0000000038AC: D1CB005C 05720908
	v_fma_f32 v93, v9, v4, v93                                 // 0000000038B4: D1CB005D 05760909
	v_fma_f32 v94, v10, v4, v94                                // 0000000038BC: D1CB005E 057A090A
	v_fma_f32 v95, v11, v4, v95                                // 0000000038C4: D1CB005F 057E090B
	v_fma_f32 v96, v12, v6, v96                                // 0000000038CC: D1CB0060 05820D0C
	v_fma_f32 v97, v13, v6, v97                                // 0000000038D4: D1CB0061 05860D0D
	v_fma_f32 v98, v14, v6, v98                                // 0000000038DC: D1CB0062 058A0D0E
	v_fma_f32 v99, v15, v6, v99                                // 0000000038E4: D1CB0063 058E0D0F
	buffer_load_dword v37, v32, s[28:31], 0 offen              // 0000000038EC: E0501000 80072520
	s_waitcnt vmcnt(15)                                        // 0000000038F4: BF8C0F7F
	v_mul_f32_dpp v4, v27, v43 row_newbcast:0 row_mask:0xf bank_mask:0xf// 0000000038F8: 0A0856FA FF01501B
	v_mfma_f32_16x16x32_fp8_fp8 v[8:11], a[96:97], a[0:1], 0   // 000000003900: D3F30008 1A020160
	buffer_load_dword v24, v22, s[32:35], 0 offen              // 000000003908: E0501000 80081816
	v_mfma_f32_16x16x32_fp8_fp8 v[8:11], a[98:99], a[2:3], v[8:11]// 000000003910: D3F30008 1C220562
	buffer_load_dwordx4 a[80:83], v58, s[24:27], 0 offen       // 000000003918: E05C1000 8086503A
	v_mfma_f32_16x16x32_fp8_fp8 v[8:11], a[100:101], a[4:5], v[8:11]// 000000003920: D3F30008 1C220964
	v_mfma_f32_16x16x32_fp8_fp8 v[8:11], a[102:103], a[6:7], v[8:11]// 000000003928: D3F30008 1C220D66
	ds_read_b128 a[40:43], v2 offset:10368                     // 000000003930: DBFE2880 28000002
	ds_read_b128 a[44:47], v2 offset:10432                     // 000000003938: DBFE28C0 2C000002
	v_mfma_f32_16x16x32_fp8_fp8 v[12:15], a[104:105], a[0:1], 0// 000000003940: D3F3000C 1A020168
	v_mfma_f32_16x16x32_fp8_fp8 v[12:15], a[106:107], a[2:3], v[12:15]// 000000003948: D3F3000C 1C32056A
	buffer_load_dwordx4 a[84:87], v58, s[24:27], 0 offen offset:1024// 000000003950: E05C1400 8086543A
	v_mfma_f32_16x16x32_fp8_fp8 v[12:15], a[108:109], a[4:5], v[12:15]// 000000003958: D3F3000C 1C32096C
	v_mfma_f32_16x16x32_fp8_fp8 v[12:15], a[110:111], a[6:7], v[12:15]// 000000003960: D3F3000C 1C320D6E
	ds_read_b128 a[48:51], v2 offset:10880                     // 000000003968: DBFE2A80 30000002
	ds_read_b128 a[52:55], v2 offset:10944                     // 000000003970: DBFE2AC0 34000002
	v_fma_f32 v100, v8, v4, v100                               // 000000003978: D1CB0064 05920908
	v_fma_f32 v101, v9, v4, v101                               // 000000003980: D1CB0065 05960909
	v_fma_f32 v102, v10, v4, v102                              // 000000003988: D1CB0066 059A090A
	v_fma_f32 v103, v11, v4, v103                              // 000000003990: D1CB0067 059E090B
	v_mul_f32_dpp v6, v27, v44 row_newbcast:0 row_mask:0xf bank_mask:0xf// 000000003998: 0A0C58FA FF01501B
	v_mfma_f32_16x16x32_fp8_fp8 v[8:11], a[96:97], a[8:9], 0   // 0000000039A0: D3F30008 1A021160
	v_mfma_f32_16x16x32_fp8_fp8 v[8:11], a[98:99], a[10:11], v[8:11]// 0000000039A8: D3F30008 1C221562
	buffer_load_dwordx4 a[88:91], v59, s[24:27], 0 offen       // 0000000039B0: E05C1000 8086583B
	v_mfma_f32_16x16x32_fp8_fp8 v[8:11], a[100:101], a[12:13], v[8:11]// 0000000039B8: D3F30008 1C221964
	v_mfma_f32_16x16x32_fp8_fp8 v[8:11], a[102:103], a[14:15], v[8:11]// 0000000039C0: D3F30008 1C221D66
	ds_read_b128 a[56:59], v2 offset:11392                     // 0000000039C8: DBFE2C80 38000002
	ds_read_b128 a[60:63], v2 offset:11456                     // 0000000039D0: DBFE2CC0 3C000002
	v_fma_f32 v120, v12, v4, v120                              // 0000000039D8: D1CB0078 05E2090C
	v_fma_f32 v121, v13, v4, v121                              // 0000000039E0: D1CB0079 05E6090D
	v_fma_f32 v122, v14, v4, v122                              // 0000000039E8: D1CB007A 05EA090E
	v_fma_f32 v123, v15, v4, v123                              // 0000000039F0: D1CB007B 05EE090F
	v_mfma_f32_16x16x32_fp8_fp8 v[12:15], a[104:105], a[8:9], 0// 0000000039F8: D3F3000C 1A021168
	v_mfma_f32_16x16x32_fp8_fp8 v[12:15], a[106:107], a[10:11], v[12:15]// 000000003A00: D3F3000C 1C32156A
	buffer_load_dwordx4 a[92:95], v59, s[24:27], 0 offen offset:1024// 000000003A08: E05C1400 80865C3B
	v_mfma_f32_16x16x32_fp8_fp8 v[12:15], a[108:109], a[12:13], v[12:15]// 000000003A10: D3F3000C 1C32196C
	v_mfma_f32_16x16x32_fp8_fp8 v[12:15], a[110:111], a[14:15], v[12:15]// 000000003A18: D3F3000C 1C321D6E
	ds_read_b128 a[64:67], v2 offset:11904                     // 000000003A20: DBFE2E80 40000002
	ds_read_b128 a[68:71], v2 offset:11968                     // 000000003A28: DBFE2EC0 44000002
	v_fma_f32 v104, v8, v6, v104                               // 000000003A30: D1CB0068 05A20D08
	v_fma_f32 v105, v9, v6, v105                               // 000000003A38: D1CB0069 05A60D09
	v_fma_f32 v106, v10, v6, v106                              // 000000003A40: D1CB006A 05AA0D0A
	v_fma_f32 v107, v11, v6, v107                              // 000000003A48: D1CB006B 05AE0D0B
	v_mul_f32_dpp v4, v27, v45 row_newbcast:0 row_mask:0xf bank_mask:0xf// 000000003A50: 0A085AFA FF01501B
	v_mfma_f32_16x16x32_fp8_fp8 v[8:11], a[96:97], a[16:17], 0 // 000000003A58: D3F30008 1A022160
	v_mfma_f32_16x16x32_fp8_fp8 v[8:11], a[98:99], a[18:19], v[8:11]// 000000003A60: D3F30008 1C222562
	v_mfma_f32_16x16x32_fp8_fp8 v[8:11], a[100:101], a[20:21], v[8:11]// 000000003A68: D3F30008 1C222964
	v_mfma_f32_16x16x32_fp8_fp8 v[8:11], a[102:103], a[22:23], v[8:11]// 000000003A70: D3F30008 1C222D66
	ds_read_b128 a[72:75], v2 offset:12416                     // 000000003A78: DBFE3080 48000002
	ds_read_b128 a[76:79], v2 offset:12480                     // 000000003A80: DBFE30C0 4C000002
	v_fma_f32 v124, v12, v6, v124                              // 000000003A88: D1CB007C 05F20D0C
	v_fma_f32 v125, v13, v6, v125                              // 000000003A90: D1CB007D 05F60D0D
	v_fma_f32 v126, v14, v6, v126                              // 000000003A98: D1CB007E 05FA0D0E
	v_fma_f32 v127, v15, v6, v127                              // 000000003AA0: D1CB007F 05FE0D0F
	v_mfma_f32_16x16x32_fp8_fp8 v[12:15], a[104:105], a[16:17], 0// 000000003AA8: D3F3000C 1A022168
	v_mfma_f32_16x16x32_fp8_fp8 v[12:15], a[106:107], a[18:19], v[12:15]// 000000003AB0: D3F3000C 1C32256A
	v_mfma_f32_16x16x32_fp8_fp8 v[12:15], a[108:109], a[20:21], v[12:15]// 000000003AB8: D3F3000C 1C32296C
	v_mfma_f32_16x16x32_fp8_fp8 v[12:15], a[110:111], a[22:23], v[12:15]// 000000003AC0: D3F3000C 1C322D6E
	v_fma_f32 v108, v8, v4, v108                               // 000000003AC8: D1CB006C 05B20908
	v_fma_f32 v109, v9, v4, v109                               // 000000003AD0: D1CB006D 05B60909
	v_fma_f32 v110, v10, v4, v110                              // 000000003AD8: D1CB006E 05BA090A
	v_fma_f32 v111, v11, v4, v111                              // 000000003AE0: D1CB006F 05BE090B
	v_mul_f32_dpp v6, v27, v46 row_newbcast:0 row_mask:0xf bank_mask:0xf// 000000003AE8: 0A0C5CFA FF01501B
	v_mfma_f32_16x16x32_fp8_fp8 v[8:11], a[96:97], a[24:25], 0 // 000000003AF0: D3F30008 1A023160
	v_mfma_f32_16x16x32_fp8_fp8 v[8:11], a[98:99], a[26:27], v[8:11]// 000000003AF8: D3F30008 1C223562
	v_mfma_f32_16x16x32_fp8_fp8 v[8:11], a[100:101], a[28:29], v[8:11]// 000000003B00: D3F30008 1C223964
	v_mfma_f32_16x16x32_fp8_fp8 v[8:11], a[102:103], a[30:31], v[8:11]// 000000003B08: D3F30008 1C223D66
	v_fma_f32 v128, v12, v4, v128                              // 000000003B10: D1CB0080 0602090C
	v_fma_f32 v129, v13, v4, v129                              // 000000003B18: D1CB0081 0606090D
	v_fma_f32 v130, v14, v4, v130                              // 000000003B20: D1CB0082 060A090E
	v_fma_f32 v131, v15, v4, v131                              // 000000003B28: D1CB0083 060E090F
	v_mfma_f32_16x16x32_fp8_fp8 v[12:15], a[104:105], a[24:25], 0// 000000003B30: D3F3000C 1A023168
	v_mfma_f32_16x16x32_fp8_fp8 v[12:15], a[106:107], a[26:27], v[12:15]// 000000003B38: D3F3000C 1C32356A
	v_mfma_f32_16x16x32_fp8_fp8 v[12:15], a[108:109], a[28:29], v[12:15]// 000000003B40: D3F3000C 1C32396C
	v_mfma_f32_16x16x32_fp8_fp8 v[12:15], a[110:111], a[30:31], v[12:15]// 000000003B48: D3F3000C 1C323D6E
	v_fma_f32 v112, v8, v6, v112                               // 000000003B50: D1CB0070 05C20D08
	v_fma_f32 v113, v9, v6, v113                               // 000000003B58: D1CB0071 05C60D09
	v_fma_f32 v114, v10, v6, v114                              // 000000003B60: D1CB0072 05CA0D0A
	v_fma_f32 v115, v11, v6, v115                              // 000000003B68: D1CB0073 05CE0D0B
	v_mul_f32_dpp v4, v27, v47 row_newbcast:0 row_mask:0xf bank_mask:0xf// 000000003B70: 0A085EFA FF01501B
	v_mfma_f32_16x16x32_fp8_fp8 v[8:11], a[96:97], a[32:33], 0 // 000000003B78: D3F30008 1A024160
	v_mfma_f32_16x16x32_fp8_fp8 v[8:11], a[98:99], a[34:35], v[8:11]// 000000003B80: D3F30008 1C224562
	v_mfma_f32_16x16x32_fp8_fp8 v[8:11], a[100:101], a[36:37], v[8:11]// 000000003B88: D3F30008 1C224964
	s_add_u32 s60, 0x180, s80                                  // 000000003B90: 803C50FF 00000180
	s_cmp_lt_u32 s60, s81                                      // 000000003B98: BF0A513C
	s_cselect_b32 s57, s57, 0                                  // 000000003B9C: 85398039
	s_cselect_b32 s3, s3, 0                                    // 000000003BA0: 85038003
	v_mfma_f32_16x16x32_fp8_fp8 v[8:11], a[102:103], a[38:39], v[8:11]// 000000003BA4: D3F30008 1C224D66
	s_add_u32 s60, 0x100, s80                                  // 000000003BAC: 803C50FF 00000100
	s_cmp_lt_u32 s60, s81                                      // 000000003BB4: BF0A513C
	s_cselect_b32 s58, s58, 0                                  // 000000003BB8: 853A803A
	v_fma_f32 v132, v12, v6, v132                              // 000000003BBC: D1CB0084 06120D0C
	v_fma_f32 v133, v13, v6, v133                              // 000000003BC4: D1CB0085 06160D0D
	v_fma_f32 v134, v14, v6, v134                              // 000000003BCC: D1CB0086 061A0D0E
	v_fma_f32 v135, v15, v6, v135                              // 000000003BD4: D1CB0087 061E0D0F
	v_mfma_f32_16x16x32_fp8_fp8 v[12:15], a[104:105], a[32:33], 0// 000000003BDC: D3F3000C 1A024168
	s_add_u32 s24, s58, s24                                    // 000000003BE4: 8018183A
	s_addc_u32 s25, 0, s25                                     // 000000003BE8: 82191980
	v_mfma_f32_16x16x32_fp8_fp8 v[12:15], a[106:107], a[34:35], v[12:15]// 000000003BEC: D3F3000C 1C32456A
	s_add_u32 s20, s57, s20                                    // 000000003BF4: 80141439
	s_addc_u32 s21, 0, s21                                     // 000000003BF8: 82151580
	s_add_u32 s28, s3, s28                                     // 000000003BFC: 801C1C03
	s_addc_u32 s29, 0, s29                                     // 000000003C00: 821D1D80
	v_mfma_f32_16x16x32_fp8_fp8 v[12:15], a[108:109], a[36:37], v[12:15]// 000000003C04: D3F3000C 1C32496C
	s_add_u32 s84, s83, s84                                    // 000000003C0C: 80545453
	s_addc_u32 s85, 0, s85                                     // 000000003C10: 82555580
	v_mfma_f32_16x16x32_fp8_fp8 v[12:15], a[110:111], a[38:39], v[12:15]// 000000003C14: D3F3000C 1C324D6E
	v_fma_f32 v116, v8, v4, v116                               // 000000003C1C: D1CB0074 05D20908
	v_fma_f32 v117, v9, v4, v117                               // 000000003C24: D1CB0075 05D60909
	v_fma_f32 v118, v10, v4, v118                              // 000000003C2C: D1CB0076 05DA090A
	v_fma_f32 v119, v11, v4, v119                              // 000000003C34: D1CB0077 05DE090B
	v_fma_f32 v136, v12, v4, v136                              // 000000003C3C: D1CB0088 0622090C
	v_fma_f32 v137, v13, v4, v137                              // 000000003C44: D1CB0089 0626090D
	v_fma_f32 v138, v14, v4, v138                              // 000000003C4C: D1CB008A 062A090E
	v_fma_f32 v139, v15, v4, v139                              // 000000003C54: D1CB008B 062E090F
	s_addk_i32 s80, 0x80                                       // 000000003C5C: B7500080
	s_cmp_lt_i32 s80, s81                                      // 000000003C60: BF045150
	s_cbranch_scc0 label_0676                                  // 000000003C64: BF8401DC
	s_waitcnt vmcnt(2) lgkmcnt(0)                              // 000000003C68: BF8C0072
	s_barrier                                                  // 000000003C6C: BF8A0000
	v_mov_b32_e32 v43, v38                                     // 000000003C70: 7E560326
	v_mov_b32_e32 v44, v39                                     // 000000003C74: 7E580327
	v_mov_b32_e32 v45, v40                                     // 000000003C78: 7E5A0328
	v_mov_b32_e32 v46, v41                                     // 000000003C7C: 7E5C0329
	v_mov_b32_e32 v47, v42                                     // 000000003C80: 7E5E032A
	v_mul_f32_dpp v4, v24, v43 row_newbcast:0 row_mask:0xf bank_mask:0xf// 000000003C84: 0A0856FA FF015018
	v_mfma_f32_16x16x32_fp8_fp8 v[8:11], a[80:81], a[40:41], 0 // 000000003C8C: D3F30008 1A025150
	buffer_load_dword v27, v23, s[32:35], 0 offen              // 000000003C94: E0501000 80081B17
	v_mfma_f32_16x16x32_fp8_fp8 v[8:11], a[82:83], a[42:43], v[8:11]// 000000003C9C: D3F30008 1C225552
	buffer_load_dwordx4 a[96:99], v58, s[84:87], 0 offen       // 000000003CA4: E05C1000 8095603A
	v_mfma_f32_16x16x32_fp8_fp8 v[8:11], a[84:85], a[44:45], v[8:11]// 000000003CAC: D3F30008 1C225954
	v_mfma_f32_16x16x32_fp8_fp8 v[8:11], a[86:87], a[46:47], v[8:11]// 000000003CB4: D3F30008 1C225D56
	v_mul_f32_dpp v6, v24, v44 row_newbcast:0 row_mask:0xf bank_mask:0xf// 000000003CBC: 0A0C58FA FF015018
	v_mfma_f32_16x16x32_fp8_fp8 v[12:15], a[80:81], a[48:49], 0// 000000003CC4: D3F3000C 1A026150
	v_mfma_f32_16x16x32_fp8_fp8 v[12:15], a[82:83], a[50:51], v[12:15]// 000000003CCC: D3F3000C 1C326552
	buffer_load_dwordx4 a[100:103], v58, s[84:87], 0 offen offset:1024// 000000003CD4: E05C1400 8095643A
	v_mfma_f32_16x16x32_fp8_fp8 v[12:15], a[84:85], a[52:53], v[12:15]// 000000003CDC: D3F3000C 1C326954
	v_mfma_f32_16x16x32_fp8_fp8 v[12:15], a[86:87], a[54:55], v[12:15]// 000000003CE4: D3F3000C 1C326D56
	v_fma_f32 v60, v8, v4, v60                                 // 000000003CEC: D1CB003C 04F20908
	v_fma_f32 v61, v9, v4, v61                                 // 000000003CF4: D1CB003D 04F60909
	v_fma_f32 v62, v10, v4, v62                                // 000000003CFC: D1CB003E 04FA090A
	v_fma_f32 v63, v11, v4, v63                                // 000000003D04: D1CB003F 04FE090B
	v_mul_f32_dpp v4, v24, v45 row_newbcast:0 row_mask:0xf bank_mask:0xf// 000000003D0C: 0A085AFA FF015018
	v_mfma_f32_16x16x32_fp8_fp8 v[8:11], a[80:81], a[56:57], 0 // 000000003D14: D3F30008 1A027150
	v_mfma_f32_16x16x32_fp8_fp8 v[8:11], a[82:83], a[58:59], v[8:11]// 000000003D1C: D3F30008 1C227552
	buffer_load_dwordx4 a[104:107], v59, s[84:87], 0 offen     // 000000003D24: E05C1000 8095683B
	v_mfma_f32_16x16x32_fp8_fp8 v[8:11], a[84:85], a[60:61], v[8:11]// 000000003D2C: D3F30008 1C227954
	v_mfma_f32_16x16x32_fp8_fp8 v[8:11], a[86:87], a[62:63], v[8:11]// 000000003D34: D3F30008 1C227D56
	v_fma_f32 v64, v12, v6, v64                                // 000000003D3C: D1CB0040 05020D0C
	v_fma_f32 v65, v13, v6, v65                                // 000000003D44: D1CB0041 05060D0D
	v_fma_f32 v66, v14, v6, v66                                // 000000003D4C: D1CB0042 050A0D0E
	v_fma_f32 v67, v15, v6, v67                                // 000000003D54: D1CB0043 050E0D0F
	v_mul_f32_dpp v6, v24, v46 row_newbcast:0 row_mask:0xf bank_mask:0xf// 000000003D5C: 0A0C5CFA FF015018
	v_mfma_f32_16x16x32_fp8_fp8 v[12:15], a[80:81], a[64:65], 0// 000000003D64: D3F3000C 1A028150
	v_mfma_f32_16x16x32_fp8_fp8 v[12:15], a[82:83], a[66:67], v[12:15]// 000000003D6C: D3F3000C 1C328552
	buffer_load_dwordx4 a[108:111], v59, s[84:87], 0 offen offset:1024// 000000003D74: E05C1400 80956C3B
	buffer_load_dword v48, s[20:23], 0 offen lds               // 000000003D7C: E0511000 80050030
	s_add_u32 m0, 0x100, s49                                   // 000000003D84: 807C31FF 00000100
	v_mfma_f32_16x16x32_fp8_fp8 v[12:15], a[84:85], a[68:69], v[12:15]// 000000003D8C: D3F3000C 1C328954
	v_mfma_f32_16x16x32_fp8_fp8 v[12:15], a[86:87], a[70:71], v[12:15]// 000000003D94: D3F3000C 1C328D56
	buffer_load_dword v49, s[20:23], 0 offen lds               // 000000003D9C: E0511000 80050031
	s_add_u32 m0, 0x200, s49                                   // 000000003DA4: 807C31FF 00000200
	v_fma_f32 v68, v8, v4, v68                                 // 000000003DAC: D1CB0044 05120908
	v_fma_f32 v69, v9, v4, v69                                 // 000000003DB4: D1CB0045 05160909
	v_fma_f32 v70, v10, v4, v70                                // 000000003DBC: D1CB0046 051A090A
	v_fma_f32 v71, v11, v4, v71                                // 000000003DC4: D1CB0047 051E090B
	v_mul_f32_dpp v4, v24, v47 row_newbcast:0 row_mask:0xf bank_mask:0xf// 000000003DCC: 0A085EFA FF015018
	v_mfma_f32_16x16x32_fp8_fp8 v[8:11], a[80:81], a[72:73], 0 // 000000003DD4: D3F30008 1A029150
	v_mfma_f32_16x16x32_fp8_fp8 v[8:11], a[82:83], a[74:75], v[8:11]// 000000003DDC: D3F30008 1C229552
	buffer_load_dword v50, s[20:23], 0 offen lds               // 000000003DE4: E0511000 80050032
	s_add_u32 m0, 0x300, s49                                   // 000000003DEC: 807C31FF 00000300
	v_mfma_f32_16x16x32_fp8_fp8 v[8:11], a[84:85], a[76:77], v[8:11]// 000000003DF4: D3F30008 1C229954
	v_mfma_f32_16x16x32_fp8_fp8 v[8:11], a[86:87], a[78:79], v[8:11]// 000000003DFC: D3F30008 1C229D56
	buffer_load_dword v51, s[20:23], 0 offen lds               // 000000003E04: E0511000 80050033
	s_add_u32 m0, 0x400, s49                                   // 000000003E0C: 807C31FF 00000400
	v_fma_f32 v72, v12, v6, v72                                // 000000003E14: D1CB0048 05220D0C
	v_fma_f32 v73, v13, v6, v73                                // 000000003E1C: D1CB0049 05260D0D
	v_fma_f32 v74, v14, v6, v74                                // 000000003E24: D1CB004A 052A0D0E
	v_fma_f32 v75, v15, v6, v75                                // 000000003E2C: D1CB004B 052E0D0F
	s_waitcnt vmcnt(9)                                         // 000000003E34: BF8C0F79
	v_mul_f32_dpp v6, v24, v43 row_newbcast:0 row_mask:0xf bank_mask:0xf// 000000003E38: 0A0C56FA FF015018
	v_mfma_f32_16x16x32_fp8_fp8 v[12:15], a[88:89], a[40:41], 0// 000000003E40: D3F3000C 1A025158
	v_mfma_f32_16x16x32_fp8_fp8 v[12:15], a[90:91], a[42:43], v[12:15]// 000000003E48: D3F3000C 1C32555A
	buffer_load_dword v52, s[20:23], 0 offen lds               // 000000003E50: E0511000 80050034
	s_add_u32 m0, 0x500, s49                                   // 000000003E58: 807C31FF 00000500
	v_mfma_f32_16x16x32_fp8_fp8 v[12:15], a[92:93], a[44:45], v[12:15]// 000000003E60: D3F3000C 1C32595C
	v_mfma_f32_16x16x32_fp8_fp8 v[12:15], a[94:95], a[46:47], v[12:15]// 000000003E68: D3F3000C 1C325D5E
	buffer_load_dword v53, s[20:23], 0 offen lds               // 000000003E70: E0511000 80050035
	s_add_u32 m0, 0x600, s49                                   // 000000003E78: 807C31FF 00000600
	v_fma_f32 v76, v8, v4, v76                                 // 000000003E80: D1CB004C 05320908
	v_fma_f32 v77, v9, v4, v77                                 // 000000003E88: D1CB004D 05360909
	v_fma_f32 v78, v10, v4, v78                                // 000000003E90: D1CB004E 053A090A
	v_fma_f32 v79, v11, v4, v79                                // 000000003E98: D1CB004F 053E090B
	v_mul_f32_dpp v4, v24, v44 row_newbcast:0 row_mask:0xf bank_mask:0xf// 000000003EA0: 0A0858FA FF015018
	v_mfma_f32_16x16x32_fp8_fp8 v[8:11], a[88:89], a[48:49], 0 // 000000003EA8: D3F30008 1A026158
	v_mfma_f32_16x16x32_fp8_fp8 v[8:11], a[90:91], a[50:51], v[8:11]// 000000003EB0: D3F30008 1C22655A
	buffer_load_dword v54, s[20:23], 0 offen lds               // 000000003EB8: E0511000 80050036
	s_add_u32 m0, 0x700, s49                                   // 000000003EC0: 807C31FF 00000700
	v_mfma_f32_16x16x32_fp8_fp8 v[8:11], a[92:93], a[52:53], v[8:11]// 000000003EC8: D3F30008 1C22695C
	v_mfma_f32_16x16x32_fp8_fp8 v[8:11], a[94:95], a[54:55], v[8:11]// 000000003ED0: D3F30008 1C226D5E
	buffer_load_dword v55, s[20:23], 0 offen lds               // 000000003ED8: E0511000 80050037
	s_add_u32 m0, 0x800, s49                                   // 000000003EE0: 807C31FF 00000800
	v_fma_f32 v80, v12, v6, v80                                // 000000003EE8: D1CB0050 05420D0C
	v_fma_f32 v81, v13, v6, v81                                // 000000003EF0: D1CB0051 05460D0D
	v_fma_f32 v82, v14, v6, v82                                // 000000003EF8: D1CB0052 054A0D0E
	v_fma_f32 v83, v15, v6, v83                                // 000000003F00: D1CB0053 054E0D0F
	v_mul_f32_dpp v6, v24, v45 row_newbcast:0 row_mask:0xf bank_mask:0xf// 000000003F08: 0A0C5AFA FF015018
	v_mfma_f32_16x16x32_fp8_fp8 v[12:15], a[88:89], a[56:57], 0// 000000003F10: D3F3000C 1A027158
	v_mfma_f32_16x16x32_fp8_fp8 v[12:15], a[90:91], a[58:59], v[12:15]// 000000003F18: D3F3000C 1C32755A
	buffer_load_dword v56, s[20:23], 0 offen lds               // 000000003F20: E0511000 80050038
	s_add_u32 m0, 0x900, s49                                   // 000000003F28: 807C31FF 00000900
	v_mfma_f32_16x16x32_fp8_fp8 v[12:15], a[92:93], a[60:61], v[12:15]// 000000003F30: D3F3000C 1C32795C
	v_mfma_f32_16x16x32_fp8_fp8 v[12:15], a[94:95], a[62:63], v[12:15]// 000000003F38: D3F3000C 1C327D5E
	buffer_load_dword v57, s[20:23], 0 offen lds               // 000000003F40: E0511000 80050039
	s_add_u32 m0, 0, s48                                       // 000000003F48: 807C3080
	v_fma_f32 v84, v8, v4, v84                                 // 000000003F4C: D1CB0054 05520908
	v_fma_f32 v85, v9, v4, v85                                 // 000000003F54: D1CB0055 05560909
	v_fma_f32 v86, v10, v4, v86                                // 000000003F5C: D1CB0056 055A090A
	v_fma_f32 v87, v11, v4, v87                                // 000000003F64: D1CB0057 055E090B
	v_mul_f32_dpp v4, v24, v46 row_newbcast:0 row_mask:0xf bank_mask:0xf// 000000003F6C: 0A085CFA FF015018
	v_mfma_f32_16x16x32_fp8_fp8 v[8:11], a[88:89], a[64:65], 0 // 000000003F74: D3F30008 1A028158
	v_mfma_f32_16x16x32_fp8_fp8 v[8:11], a[90:91], a[66:67], v[8:11]// 000000003F7C: D3F30008 1C22855A
	buffer_load_dword v38, v28, s[28:31], 0 offen              // 000000003F84: E0501000 8007261C
	v_mfma_f32_16x16x32_fp8_fp8 v[8:11], a[92:93], a[68:69], v[8:11]// 000000003F8C: D3F30008 1C22895C
	v_mfma_f32_16x16x32_fp8_fp8 v[8:11], a[94:95], a[70:71], v[8:11]// 000000003F94: D3F30008 1C228D5E
	buffer_load_dword v39, v29, s[28:31], 0 offen              // 000000003F9C: E0501000 8007271D
	v_fma_f32 v88, v12, v6, v88                                // 000000003FA4: D1CB0058 05620D0C
	v_fma_f32 v89, v13, v6, v89                                // 000000003FAC: D1CB0059 05660D0D
	v_fma_f32 v90, v14, v6, v90                                // 000000003FB4: D1CB005A 056A0D0E
	v_fma_f32 v91, v15, v6, v91                                // 000000003FBC: D1CB005B 056E0D0F
	v_mul_f32_dpp v6, v24, v47 row_newbcast:0 row_mask:0xf bank_mask:0xf// 000000003FC4: 0A0C5EFA FF015018
	v_mfma_f32_16x16x32_fp8_fp8 v[12:15], a[88:89], a[72:73], 0// 000000003FCC: D3F3000C 1A029158
	v_mfma_f32_16x16x32_fp8_fp8 v[12:15], a[90:91], a[74:75], v[12:15]// 000000003FD4: D3F3000C 1C32955A
	buffer_load_dword v40, v30, s[28:31], 0 offen              // 000000003FDC: E0501000 8007281E
	s_add_u32 s60, 0x80, s80                                   // 000000003FE4: 803C50FF 00000080
	s_cmp_lt_u32 s60, s81                                      // 000000003FEC: BF0A513C
	s_cselect_b32 s83, s83, 0                                  // 000000003FF0: 85538053
	s_cselect_b32 s4, s4, 0                                    // 000000003FF4: 85048004
	v_mfma_f32_16x16x32_fp8_fp8 v[12:15], a[92:93], a[76:77], v[12:15]// 000000003FF8: D3F3000C 1C32995C
	s_add_u32 s32, s4, s32                                     // 000000004000: 80202004
	s_addc_u32 s33, 0, s33                                     // 000000004004: 82212180
	v_mfma_f32_16x16x32_fp8_fp8 v[12:15], a[94:95], a[78:79], v[12:15]// 000000004008: D3F3000C 1C329D5E
	buffer_load_dword v41, v31, s[28:31], 0 offen              // 000000004010: E0501000 8007291F
	v_fma_f32 v92, v8, v4, v92                                 // 000000004018: D1CB005C 05720908
	v_fma_f32 v93, v9, v4, v93                                 // 000000004020: D1CB005D 05760909
	v_fma_f32 v94, v10, v4, v94                                // 000000004028: D1CB005E 057A090A
	v_fma_f32 v95, v11, v4, v95                                // 000000004030: D1CB005F 057E090B
	v_fma_f32 v96, v12, v6, v96                                // 000000004038: D1CB0060 05820D0C
	v_fma_f32 v97, v13, v6, v97                                // 000000004040: D1CB0061 05860D0D
	v_fma_f32 v98, v14, v6, v98                                // 000000004048: D1CB0062 058A0D0E
	v_fma_f32 v99, v15, v6, v99                                // 000000004050: D1CB0063 058E0D0F
	buffer_load_dword v42, v32, s[28:31], 0 offen              // 000000004058: E0501000 80072A20
	s_waitcnt vmcnt(15)                                        // 000000004060: BF8C0F7F
	v_mul_f32_dpp v4, v27, v43 row_newbcast:0 row_mask:0xf bank_mask:0xf// 000000004064: 0A0856FA FF01501B
	v_mfma_f32_16x16x32_fp8_fp8 v[8:11], a[96:97], a[40:41], 0 // 00000000406C: D3F30008 1A025160
	buffer_load_dword v24, v22, s[32:35], 0 offen              // 000000004074: E0501000 80081816
	v_mfma_f32_16x16x32_fp8_fp8 v[8:11], a[98:99], a[42:43], v[8:11]// 00000000407C: D3F30008 1C225562
	buffer_load_dwordx4 a[80:83], v58, s[24:27], 0 offen       // 000000004084: E05C1000 8086503A
	v_mfma_f32_16x16x32_fp8_fp8 v[8:11], a[100:101], a[44:45], v[8:11]// 00000000408C: D3F30008 1C225964
	v_mfma_f32_16x16x32_fp8_fp8 v[8:11], a[102:103], a[46:47], v[8:11]// 000000004094: D3F30008 1C225D66
	ds_read_b128 a[0:3], v2                                    // 00000000409C: DBFE0000 00000002
	ds_read_b128 a[4:7], v2 offset:64                          // 0000000040A4: DBFE0040 04000002
	v_mfma_f32_16x16x32_fp8_fp8 v[12:15], a[104:105], a[40:41], 0// 0000000040AC: D3F3000C 1A025168
	v_mfma_f32_16x16x32_fp8_fp8 v[12:15], a[106:107], a[42:43], v[12:15]// 0000000040B4: D3F3000C 1C32556A
	buffer_load_dwordx4 a[84:87], v58, s[24:27], 0 offen offset:1024// 0000000040BC: E05C1400 8086543A
	v_mfma_f32_16x16x32_fp8_fp8 v[12:15], a[108:109], a[44:45], v[12:15]// 0000000040C4: D3F3000C 1C32596C
	v_mfma_f32_16x16x32_fp8_fp8 v[12:15], a[110:111], a[46:47], v[12:15]// 0000000040CC: D3F3000C 1C325D6E
	ds_read_b128 a[8:11], v2 offset:512                        // 0000000040D4: DBFE0200 08000002
	ds_read_b128 a[12:15], v2 offset:576                       // 0000000040DC: DBFE0240 0C000002
	v_fma_f32 v100, v8, v4, v100                               // 0000000040E4: D1CB0064 05920908
	v_fma_f32 v101, v9, v4, v101                               // 0000000040EC: D1CB0065 05960909
	v_fma_f32 v102, v10, v4, v102                              // 0000000040F4: D1CB0066 059A090A
	v_fma_f32 v103, v11, v4, v103                              // 0000000040FC: D1CB0067 059E090B
	v_mul_f32_dpp v6, v27, v44 row_newbcast:0 row_mask:0xf bank_mask:0xf// 000000004104: 0A0C58FA FF01501B
	v_mfma_f32_16x16x32_fp8_fp8 v[8:11], a[96:97], a[48:49], 0 // 00000000410C: D3F30008 1A026160
	v_mfma_f32_16x16x32_fp8_fp8 v[8:11], a[98:99], a[50:51], v[8:11]// 000000004114: D3F30008 1C226562
	buffer_load_dwordx4 a[88:91], v59, s[24:27], 0 offen       // 00000000411C: E05C1000 8086583B
	v_mfma_f32_16x16x32_fp8_fp8 v[8:11], a[100:101], a[52:53], v[8:11]// 000000004124: D3F30008 1C226964
	v_mfma_f32_16x16x32_fp8_fp8 v[8:11], a[102:103], a[54:55], v[8:11]// 00000000412C: D3F30008 1C226D66
	ds_read_b128 a[16:19], v2 offset:1024                      // 000000004134: DBFE0400 10000002
	ds_read_b128 a[20:23], v2 offset:1088                      // 00000000413C: DBFE0440 14000002
	v_fma_f32 v120, v12, v4, v120                              // 000000004144: D1CB0078 05E2090C
	v_fma_f32 v121, v13, v4, v121                              // 00000000414C: D1CB0079 05E6090D
	v_fma_f32 v122, v14, v4, v122                              // 000000004154: D1CB007A 05EA090E
	v_fma_f32 v123, v15, v4, v123                              // 00000000415C: D1CB007B 05EE090F
	v_mfma_f32_16x16x32_fp8_fp8 v[12:15], a[104:105], a[48:49], 0// 000000004164: D3F3000C 1A026168
	v_mfma_f32_16x16x32_fp8_fp8 v[12:15], a[106:107], a[50:51], v[12:15]// 00000000416C: D3F3000C 1C32656A
	buffer_load_dwordx4 a[92:95], v59, s[24:27], 0 offen offset:1024// 000000004174: E05C1400 80865C3B
	v_mfma_f32_16x16x32_fp8_fp8 v[12:15], a[108:109], a[52:53], v[12:15]// 00000000417C: D3F3000C 1C32696C
	v_mfma_f32_16x16x32_fp8_fp8 v[12:15], a[110:111], a[54:55], v[12:15]// 000000004184: D3F3000C 1C326D6E
	ds_read_b128 a[24:27], v2 offset:1536                      // 00000000418C: DBFE0600 18000002
	ds_read_b128 a[28:31], v2 offset:1600                      // 000000004194: DBFE0640 1C000002
	v_fma_f32 v104, v8, v6, v104                               // 00000000419C: D1CB0068 05A20D08
	v_fma_f32 v105, v9, v6, v105                               // 0000000041A4: D1CB0069 05A60D09
	v_fma_f32 v106, v10, v6, v106                              // 0000000041AC: D1CB006A 05AA0D0A
	v_fma_f32 v107, v11, v6, v107                              // 0000000041B4: D1CB006B 05AE0D0B
	v_mul_f32_dpp v4, v27, v45 row_newbcast:0 row_mask:0xf bank_mask:0xf// 0000000041BC: 0A085AFA FF01501B
	v_mfma_f32_16x16x32_fp8_fp8 v[8:11], a[96:97], a[56:57], 0 // 0000000041C4: D3F30008 1A027160
	v_mfma_f32_16x16x32_fp8_fp8 v[8:11], a[98:99], a[58:59], v[8:11]// 0000000041CC: D3F30008 1C227562
	v_mfma_f32_16x16x32_fp8_fp8 v[8:11], a[100:101], a[60:61], v[8:11]// 0000000041D4: D3F30008 1C227964
	v_mfma_f32_16x16x32_fp8_fp8 v[8:11], a[102:103], a[62:63], v[8:11]// 0000000041DC: D3F30008 1C227D66
	ds_read_b128 a[32:35], v2 offset:2048                      // 0000000041E4: DBFE0800 20000002
	ds_read_b128 a[36:39], v2 offset:2112                      // 0000000041EC: DBFE0840 24000002
	v_fma_f32 v124, v12, v6, v124                              // 0000000041F4: D1CB007C 05F20D0C
	v_fma_f32 v125, v13, v6, v125                              // 0000000041FC: D1CB007D 05F60D0D
	v_fma_f32 v126, v14, v6, v126                              // 000000004204: D1CB007E 05FA0D0E
	v_fma_f32 v127, v15, v6, v127                              // 00000000420C: D1CB007F 05FE0D0F
	v_mfma_f32_16x16x32_fp8_fp8 v[12:15], a[104:105], a[56:57], 0// 000000004214: D3F3000C 1A027168
	v_mfma_f32_16x16x32_fp8_fp8 v[12:15], a[106:107], a[58:59], v[12:15]// 00000000421C: D3F3000C 1C32756A
	v_mfma_f32_16x16x32_fp8_fp8 v[12:15], a[108:109], a[60:61], v[12:15]// 000000004224: D3F3000C 1C32796C
	v_mfma_f32_16x16x32_fp8_fp8 v[12:15], a[110:111], a[62:63], v[12:15]// 00000000422C: D3F3000C 1C327D6E
	v_fma_f32 v108, v8, v4, v108                               // 000000004234: D1CB006C 05B20908
	v_fma_f32 v109, v9, v4, v109                               // 00000000423C: D1CB006D 05B60909
	v_fma_f32 v110, v10, v4, v110                              // 000000004244: D1CB006E 05BA090A
	v_fma_f32 v111, v11, v4, v111                              // 00000000424C: D1CB006F 05BE090B
	v_mul_f32_dpp v6, v27, v46 row_newbcast:0 row_mask:0xf bank_mask:0xf// 000000004254: 0A0C5CFA FF01501B
	v_mfma_f32_16x16x32_fp8_fp8 v[8:11], a[96:97], a[64:65], 0 // 00000000425C: D3F30008 1A028160
	v_mfma_f32_16x16x32_fp8_fp8 v[8:11], a[98:99], a[66:67], v[8:11]// 000000004264: D3F30008 1C228562
	v_mfma_f32_16x16x32_fp8_fp8 v[8:11], a[100:101], a[68:69], v[8:11]// 00000000426C: D3F30008 1C228964
	v_mfma_f32_16x16x32_fp8_fp8 v[8:11], a[102:103], a[70:71], v[8:11]// 000000004274: D3F30008 1C228D66
	v_fma_f32 v128, v12, v4, v128                              // 00000000427C: D1CB0080 0602090C
	v_fma_f32 v129, v13, v4, v129                              // 000000004284: D1CB0081 0606090D
	v_fma_f32 v130, v14, v4, v130                              // 00000000428C: D1CB0082 060A090E
	v_fma_f32 v131, v15, v4, v131                              // 000000004294: D1CB0083 060E090F
	v_mfma_f32_16x16x32_fp8_fp8 v[12:15], a[104:105], a[64:65], 0// 00000000429C: D3F3000C 1A028168
	v_mfma_f32_16x16x32_fp8_fp8 v[12:15], a[106:107], a[66:67], v[12:15]// 0000000042A4: D3F3000C 1C32856A
	v_mfma_f32_16x16x32_fp8_fp8 v[12:15], a[108:109], a[68:69], v[12:15]// 0000000042AC: D3F3000C 1C32896C
	v_mfma_f32_16x16x32_fp8_fp8 v[12:15], a[110:111], a[70:71], v[12:15]// 0000000042B4: D3F3000C 1C328D6E
	v_fma_f32 v112, v8, v6, v112                               // 0000000042BC: D1CB0070 05C20D08
	v_fma_f32 v113, v9, v6, v113                               // 0000000042C4: D1CB0071 05C60D09
	v_fma_f32 v114, v10, v6, v114                              // 0000000042CC: D1CB0072 05CA0D0A
	v_fma_f32 v115, v11, v6, v115                              // 0000000042D4: D1CB0073 05CE0D0B
	v_mul_f32_dpp v4, v27, v47 row_newbcast:0 row_mask:0xf bank_mask:0xf// 0000000042DC: 0A085EFA FF01501B
	v_mfma_f32_16x16x32_fp8_fp8 v[8:11], a[96:97], a[72:73], 0 // 0000000042E4: D3F30008 1A029160
	v_mfma_f32_16x16x32_fp8_fp8 v[8:11], a[98:99], a[74:75], v[8:11]// 0000000042EC: D3F30008 1C229562
	v_mfma_f32_16x16x32_fp8_fp8 v[8:11], a[100:101], a[76:77], v[8:11]// 0000000042F4: D3F30008 1C229964
	s_add_u32 s60, 0x180, s80                                  // 0000000042FC: 803C50FF 00000180
	s_cmp_lt_u32 s60, s81                                      // 000000004304: BF0A513C
	s_cselect_b32 s57, s57, 0                                  // 000000004308: 85398039
	s_cselect_b32 s3, s3, 0                                    // 00000000430C: 85038003
	v_mfma_f32_16x16x32_fp8_fp8 v[8:11], a[102:103], a[78:79], v[8:11]// 000000004310: D3F30008 1C229D66
	s_add_u32 s60, 0x100, s80                                  // 000000004318: 803C50FF 00000100
	s_cmp_lt_u32 s60, s81                                      // 000000004320: BF0A513C
	s_cselect_b32 s58, s58, 0                                  // 000000004324: 853A803A
	v_fma_f32 v132, v12, v6, v132                              // 000000004328: D1CB0084 06120D0C
	v_fma_f32 v133, v13, v6, v133                              // 000000004330: D1CB0085 06160D0D
	v_fma_f32 v134, v14, v6, v134                              // 000000004338: D1CB0086 061A0D0E
	v_fma_f32 v135, v15, v6, v135                              // 000000004340: D1CB0087 061E0D0F
	v_mfma_f32_16x16x32_fp8_fp8 v[12:15], a[104:105], a[72:73], 0// 000000004348: D3F3000C 1A029168
	s_add_u32 s24, s58, s24                                    // 000000004350: 8018183A
	s_addc_u32 s25, 0, s25                                     // 000000004354: 82191980
	v_mfma_f32_16x16x32_fp8_fp8 v[12:15], a[106:107], a[74:75], v[12:15]// 000000004358: D3F3000C 1C32956A
	s_add_u32 s20, s57, s20                                    // 000000004360: 80141439
	s_addc_u32 s21, 0, s21                                     // 000000004364: 82151580
	s_add_u32 s28, s3, s28                                     // 000000004368: 801C1C03
	s_addc_u32 s29, 0, s29                                     // 00000000436C: 821D1D80
	v_mfma_f32_16x16x32_fp8_fp8 v[12:15], a[108:109], a[76:77], v[12:15]// 000000004370: D3F3000C 1C32996C
	s_add_u32 s84, s83, s84                                    // 000000004378: 80545453
	s_addc_u32 s85, 0, s85                                     // 00000000437C: 82555580
	v_mfma_f32_16x16x32_fp8_fp8 v[12:15], a[110:111], a[78:79], v[12:15]// 000000004380: D3F3000C 1C329D6E
	v_fma_f32 v116, v8, v4, v116                               // 000000004388: D1CB0074 05D20908
	v_fma_f32 v117, v9, v4, v117                               // 000000004390: D1CB0075 05D60909
	v_fma_f32 v118, v10, v4, v118                              // 000000004398: D1CB0076 05DA090A
	v_fma_f32 v119, v11, v4, v119                              // 0000000043A0: D1CB0077 05DE090B
	v_fma_f32 v136, v12, v4, v136                              // 0000000043A8: D1CB0088 0622090C
	v_fma_f32 v137, v13, v4, v137                              // 0000000043B0: D1CB0089 0626090D
	v_fma_f32 v138, v14, v4, v138                              // 0000000043B8: D1CB008A 062A090E
	v_fma_f32 v139, v15, v4, v139                              // 0000000043C0: D1CB008B 062E090F
	s_addk_i32 s80, 0x80                                       // 0000000043C8: B7500080
	s_cmp_lt_i32 s80, s81                                      // 0000000043CC: BF045150
	s_cbranch_scc0 label_0676                                  // 0000000043D0: BF840001
	s_branch label_02BF                                        // 0000000043D4: BF82FC49

00000000000043d8 <label_0676>:
	s_cmp_eq_u32 s88, 0                                        // 0000000043D8: BF068058
	s_cbranch_scc0 label_0D44                                  // 0000000043DC: BF8406CC
	s_cmp_eq_u32 s89, 0                                        // 0000000043E0: BF068059
	s_cbranch_scc1 label_080F                                  // 0000000043E4: BF850195
	v_mov_b32_e32 v8, v1                                       // 0000000043E8: 7E100301
	v_mov_b32_e32 v9, v1                                       // 0000000043EC: 7E120301
	s_mov_b32 s60, s6                                          // 0000000043F0: BEBC0006
	s_mov_b32 s61, s6                                          // 0000000043F4: BEBD0006
	v_pk_mul_f32 v[4:5], v[60:61], v[60:61]                    // 0000000043F8: D3B14004 1802793C
	v_pk_mul_f32 v[6:7], v[62:63], v[62:63]                    // 000000004400: D3B14006 18027D3E
	v_pk_fma_f32 v[4:5], v[4:5], s[78:79], v[8:9]              // 000000004408: D3B04004 1C209D04
	v_pk_fma_f32 v[6:7], v[6:7], s[78:79], v[8:9]              // 000000004410: D3B04006 1C209D06
	v_pk_mul_f32 v[4:5], v[4:5], v[60:61]                      // 000000004418: D3B14004 18027904
	v_pk_mul_f32 v[6:7], v[6:7], v[62:63]                      // 000000004420: D3B14006 18027D06
	v_pk_mul_f32 v[4:5], v[4:5], s[60:61]                      // 000000004428: D3B14004 18007904
	v_pk_mul_f32 v[6:7], v[6:7], s[60:61]                      // 000000004430: D3B14006 18007906
	v_exp_f32_e32 v4, v4                                       // 000000004438: 7E084104
	v_exp_f32_e32 v5, v5                                       // 00000000443C: 7E0A4105
	v_exp_f32_e32 v6, v6                                       // 000000004440: 7E0C4106
	v_exp_f32_e32 v7, v7                                       // 000000004444: 7E0E4107
	v_add_f32_e64 v4, v4, 1.0                                  // 000000004448: D1010004 0001E504
	v_add_f32_e64 v5, v5, 1.0                                  // 000000004450: D1010005 0001E505
	v_add_f32_e64 v6, v6, 1.0                                  // 000000004458: D1010006 0001E506
	v_add_f32_e64 v7, v7, 1.0                                  // 000000004460: D1010007 0001E507
	v_rcp_f32_e32 v4, v4                                       // 000000004468: 7E084504
	v_rcp_f32_e32 v5, v5                                       // 00000000446C: 7E0A4505
	v_rcp_f32_e32 v6, v6                                       // 000000004470: 7E0C4506
	v_rcp_f32_e32 v7, v7                                       // 000000004474: 7E0E4507
	v_mul_f32_e32 v60, v60, v4                                 // 000000004478: 0A78093C
	v_mul_f32_e32 v61, v61, v5                                 // 00000000447C: 0A7A0B3D
	v_mul_f32_e32 v62, v62, v6                                 // 000000004480: 0A7C0D3E
	v_mul_f32_e32 v63, v63, v7                                 // 000000004484: 0A7E0F3F
	v_mul_f32_e32 v60, v60, v100                               // 000000004488: 0A78C93C
	v_mul_f32_e32 v61, v61, v101                               // 00000000448C: 0A7ACB3D
	v_mul_f32_e32 v62, v62, v102                               // 000000004490: 0A7CCD3E
	v_mul_f32_e32 v63, v63, v103                               // 000000004494: 0A7ECF3F
	v_pk_mul_f32 v[4:5], v[64:65], v[64:65]                    // 000000004498: D3B14004 18028140
	v_pk_mul_f32 v[6:7], v[66:67], v[66:67]                    // 0000000044A0: D3B14006 18028542
	v_pk_fma_f32 v[4:5], v[4:5], s[78:79], v[8:9]              // 0000000044A8: D3B04004 1C209D04
	v_pk_fma_f32 v[6:7], v[6:7], s[78:79], v[8:9]              // 0000000044B0: D3B04006 1C209D06
	v_pk_mul_f32 v[4:5], v[4:5], v[64:65]                      // 0000000044B8: D3B14004 18028104
	v_pk_mul_f32 v[6:7], v[6:7], v[66:67]                      // 0000000044C0: D3B14006 18028506
	v_pk_mul_f32 v[4:5], v[4:5], s[60:61]                      // 0000000044C8: D3B14004 18007904
	v_pk_mul_f32 v[6:7], v[6:7], s[60:61]                      // 0000000044D0: D3B14006 18007906
	v_exp_f32_e32 v4, v4                                       // 0000000044D8: 7E084104
	v_exp_f32_e32 v5, v5                                       // 0000000044DC: 7E0A4105
	v_exp_f32_e32 v6, v6                                       // 0000000044E0: 7E0C4106
	v_exp_f32_e32 v7, v7                                       // 0000000044E4: 7E0E4107
	v_add_f32_e64 v4, v4, 1.0                                  // 0000000044E8: D1010004 0001E504
	v_add_f32_e64 v5, v5, 1.0                                  // 0000000044F0: D1010005 0001E505
	v_add_f32_e64 v6, v6, 1.0                                  // 0000000044F8: D1010006 0001E506
	v_add_f32_e64 v7, v7, 1.0                                  // 000000004500: D1010007 0001E507
	v_rcp_f32_e32 v4, v4                                       // 000000004508: 7E084504
	v_rcp_f32_e32 v5, v5                                       // 00000000450C: 7E0A4505
	v_rcp_f32_e32 v6, v6                                       // 000000004510: 7E0C4506
	v_rcp_f32_e32 v7, v7                                       // 000000004514: 7E0E4507
	v_mul_f32_e32 v64, v64, v4                                 // 000000004518: 0A800940
	v_mul_f32_e32 v65, v65, v5                                 // 00000000451C: 0A820B41
	v_mul_f32_e32 v66, v66, v6                                 // 000000004520: 0A840D42
	v_mul_f32_e32 v67, v67, v7                                 // 000000004524: 0A860F43
	v_mul_f32_e32 v64, v64, v104                               // 000000004528: 0A80D140
	v_mul_f32_e32 v65, v65, v105                               // 00000000452C: 0A82D341
	v_mul_f32_e32 v66, v66, v106                               // 000000004530: 0A84D542
	v_mul_f32_e32 v67, v67, v107                               // 000000004534: 0A86D743
	v_pk_mul_f32 v[4:5], v[68:69], v[68:69]                    // 000000004538: D3B14004 18028944
	v_pk_mul_f32 v[6:7], v[70:71], v[70:71]                    // 000000004540: D3B14006 18028D46
	v_pk_fma_f32 v[4:5], v[4:5], s[78:79], v[8:9]              // 000000004548: D3B04004 1C209D04
	v_pk_fma_f32 v[6:7], v[6:7], s[78:79], v[8:9]              // 000000004550: D3B04006 1C209D06
	v_pk_mul_f32 v[4:5], v[4:5], v[68:69]                      // 000000004558: D3B14004 18028904
	v_pk_mul_f32 v[6:7], v[6:7], v[70:71]                      // 000000004560: D3B14006 18028D06
	v_pk_mul_f32 v[4:5], v[4:5], s[60:61]                      // 000000004568: D3B14004 18007904
	v_pk_mul_f32 v[6:7], v[6:7], s[60:61]                      // 000000004570: D3B14006 18007906
	v_exp_f32_e32 v4, v4                                       // 000000004578: 7E084104
	v_exp_f32_e32 v5, v5                                       // 00000000457C: 7E0A4105
	v_exp_f32_e32 v6, v6                                       // 000000004580: 7E0C4106
	v_exp_f32_e32 v7, v7                                       // 000000004584: 7E0E4107
	v_add_f32_e64 v4, v4, 1.0                                  // 000000004588: D1010004 0001E504
	v_add_f32_e64 v5, v5, 1.0                                  // 000000004590: D1010005 0001E505
	v_add_f32_e64 v6, v6, 1.0                                  // 000000004598: D1010006 0001E506
	v_add_f32_e64 v7, v7, 1.0                                  // 0000000045A0: D1010007 0001E507
	v_rcp_f32_e32 v4, v4                                       // 0000000045A8: 7E084504
	v_rcp_f32_e32 v5, v5                                       // 0000000045AC: 7E0A4505
	v_rcp_f32_e32 v6, v6                                       // 0000000045B0: 7E0C4506
	v_rcp_f32_e32 v7, v7                                       // 0000000045B4: 7E0E4507
	v_mul_f32_e32 v68, v68, v4                                 // 0000000045B8: 0A880944
	v_mul_f32_e32 v69, v69, v5                                 // 0000000045BC: 0A8A0B45
	v_mul_f32_e32 v70, v70, v6                                 // 0000000045C0: 0A8C0D46
	v_mul_f32_e32 v71, v71, v7                                 // 0000000045C4: 0A8E0F47
	v_mul_f32_e32 v68, v68, v108                               // 0000000045C8: 0A88D944
	v_mul_f32_e32 v69, v69, v109                               // 0000000045CC: 0A8ADB45
	v_mul_f32_e32 v70, v70, v110                               // 0000000045D0: 0A8CDD46
	v_mul_f32_e32 v71, v71, v111                               // 0000000045D4: 0A8EDF47
	v_pk_mul_f32 v[4:5], v[72:73], v[72:73]                    // 0000000045D8: D3B14004 18029148
	v_pk_mul_f32 v[6:7], v[74:75], v[74:75]                    // 0000000045E0: D3B14006 1802954A
	v_pk_fma_f32 v[4:5], v[4:5], s[78:79], v[8:9]              // 0000000045E8: D3B04004 1C209D04
	v_pk_fma_f32 v[6:7], v[6:7], s[78:79], v[8:9]              // 0000000045F0: D3B04006 1C209D06
	v_pk_mul_f32 v[4:5], v[4:5], v[72:73]                      // 0000000045F8: D3B14004 18029104
	v_pk_mul_f32 v[6:7], v[6:7], v[74:75]                      // 000000004600: D3B14006 18029506
	v_pk_mul_f32 v[4:5], v[4:5], s[60:61]                      // 000000004608: D3B14004 18007904
	v_pk_mul_f32 v[6:7], v[6:7], s[60:61]                      // 000000004610: D3B14006 18007906
	v_exp_f32_e32 v4, v4                                       // 000000004618: 7E084104
	v_exp_f32_e32 v5, v5                                       // 00000000461C: 7E0A4105
	v_exp_f32_e32 v6, v6                                       // 000000004620: 7E0C4106
	v_exp_f32_e32 v7, v7                                       // 000000004624: 7E0E4107
	v_add_f32_e64 v4, v4, 1.0                                  // 000000004628: D1010004 0001E504
	v_add_f32_e64 v5, v5, 1.0                                  // 000000004630: D1010005 0001E505
	v_add_f32_e64 v6, v6, 1.0                                  // 000000004638: D1010006 0001E506
	v_add_f32_e64 v7, v7, 1.0                                  // 000000004640: D1010007 0001E507
	v_rcp_f32_e32 v4, v4                                       // 000000004648: 7E084504
	v_rcp_f32_e32 v5, v5                                       // 00000000464C: 7E0A4505
	v_rcp_f32_e32 v6, v6                                       // 000000004650: 7E0C4506
	v_rcp_f32_e32 v7, v7                                       // 000000004654: 7E0E4507
	v_mul_f32_e32 v72, v72, v4                                 // 000000004658: 0A900948
	v_mul_f32_e32 v73, v73, v5                                 // 00000000465C: 0A920B49
	v_mul_f32_e32 v74, v74, v6                                 // 000000004660: 0A940D4A
	v_mul_f32_e32 v75, v75, v7                                 // 000000004664: 0A960F4B
	v_mul_f32_e32 v72, v72, v112                               // 000000004668: 0A90E148
	v_mul_f32_e32 v73, v73, v113                               // 00000000466C: 0A92E349
	v_mul_f32_e32 v74, v74, v114                               // 000000004670: 0A94E54A
	v_mul_f32_e32 v75, v75, v115                               // 000000004674: 0A96E74B
	v_pk_mul_f32 v[4:5], v[76:77], v[76:77]                    // 000000004678: D3B14004 1802994C
	v_pk_mul_f32 v[6:7], v[78:79], v[78:79]                    // 000000004680: D3B14006 18029D4E
	v_pk_fma_f32 v[4:5], v[4:5], s[78:79], v[8:9]              // 000000004688: D3B04004 1C209D04
	v_pk_fma_f32 v[6:7], v[6:7], s[78:79], v[8:9]              // 000000004690: D3B04006 1C209D06
	v_pk_mul_f32 v[4:5], v[4:5], v[76:77]                      // 000000004698: D3B14004 18029904
	v_pk_mul_f32 v[6:7], v[6:7], v[78:79]                      // 0000000046A0: D3B14006 18029D06
	v_pk_mul_f32 v[4:5], v[4:5], s[60:61]                      // 0000000046A8: D3B14004 18007904
	v_pk_mul_f32 v[6:7], v[6:7], s[60:61]                      // 0000000046B0: D3B14006 18007906
	v_exp_f32_e32 v4, v4                                       // 0000000046B8: 7E084104
	v_exp_f32_e32 v5, v5                                       // 0000000046BC: 7E0A4105
	v_exp_f32_e32 v6, v6                                       // 0000000046C0: 7E0C4106
	v_exp_f32_e32 v7, v7                                       // 0000000046C4: 7E0E4107
	v_add_f32_e64 v4, v4, 1.0                                  // 0000000046C8: D1010004 0001E504
	v_add_f32_e64 v5, v5, 1.0                                  // 0000000046D0: D1010005 0001E505
	v_add_f32_e64 v6, v6, 1.0                                  // 0000000046D8: D1010006 0001E506
	v_add_f32_e64 v7, v7, 1.0                                  // 0000000046E0: D1010007 0001E507
	v_rcp_f32_e32 v4, v4                                       // 0000000046E8: 7E084504
	v_rcp_f32_e32 v5, v5                                       // 0000000046EC: 7E0A4505
	v_rcp_f32_e32 v6, v6                                       // 0000000046F0: 7E0C4506
	v_rcp_f32_e32 v7, v7                                       // 0000000046F4: 7E0E4507
	v_mul_f32_e32 v76, v76, v4                                 // 0000000046F8: 0A98094C
	v_mul_f32_e32 v77, v77, v5                                 // 0000000046FC: 0A9A0B4D
	v_mul_f32_e32 v78, v78, v6                                 // 000000004700: 0A9C0D4E
	v_mul_f32_e32 v79, v79, v7                                 // 000000004704: 0A9E0F4F
	v_mul_f32_e32 v76, v76, v116                               // 000000004708: 0A98E94C
	v_mul_f32_e32 v77, v77, v117                               // 00000000470C: 0A9AEB4D
	v_mul_f32_e32 v78, v78, v118                               // 000000004710: 0A9CED4E
	v_mul_f32_e32 v79, v79, v119                               // 000000004714: 0A9EEF4F
	v_pk_mul_f32 v[4:5], v[80:81], v[80:81]                    // 000000004718: D3B14004 1802A150
	v_pk_mul_f32 v[6:7], v[82:83], v[82:83]                    // 000000004720: D3B14006 1802A552
	v_pk_fma_f32 v[4:5], v[4:5], s[78:79], v[8:9]              // 000000004728: D3B04004 1C209D04
	v_pk_fma_f32 v[6:7], v[6:7], s[78:79], v[8:9]              // 000000004730: D3B04006 1C209D06
	v_pk_mul_f32 v[4:5], v[4:5], v[80:81]                      // 000000004738: D3B14004 1802A104
	v_pk_mul_f32 v[6:7], v[6:7], v[82:83]                      // 000000004740: D3B14006 1802A506
	v_pk_mul_f32 v[4:5], v[4:5], s[60:61]                      // 000000004748: D3B14004 18007904
	v_pk_mul_f32 v[6:7], v[6:7], s[60:61]                      // 000000004750: D3B14006 18007906
	v_exp_f32_e32 v4, v4                                       // 000000004758: 7E084104
	v_exp_f32_e32 v5, v5                                       // 00000000475C: 7E0A4105
	v_exp_f32_e32 v6, v6                                       // 000000004760: 7E0C4106
	v_exp_f32_e32 v7, v7                                       // 000000004764: 7E0E4107
	v_add_f32_e64 v4, v4, 1.0                                  // 000000004768: D1010004 0001E504
	v_add_f32_e64 v5, v5, 1.0                                  // 000000004770: D1010005 0001E505
	v_add_f32_e64 v6, v6, 1.0                                  // 000000004778: D1010006 0001E506
	v_add_f32_e64 v7, v7, 1.0                                  // 000000004780: D1010007 0001E507
	v_rcp_f32_e32 v4, v4                                       // 000000004788: 7E084504
	v_rcp_f32_e32 v5, v5                                       // 00000000478C: 7E0A4505
	v_rcp_f32_e32 v6, v6                                       // 000000004790: 7E0C4506
	v_rcp_f32_e32 v7, v7                                       // 000000004794: 7E0E4507
	v_mul_f32_e32 v80, v80, v4                                 // 000000004798: 0AA00950
	v_mul_f32_e32 v81, v81, v5                                 // 00000000479C: 0AA20B51
	v_mul_f32_e32 v82, v82, v6                                 // 0000000047A0: 0AA40D52
	v_mul_f32_e32 v83, v83, v7                                 // 0000000047A4: 0AA60F53
	v_mul_f32_e32 v80, v80, v120                               // 0000000047A8: 0AA0F150
	v_mul_f32_e32 v81, v81, v121                               // 0000000047AC: 0AA2F351
	v_mul_f32_e32 v82, v82, v122                               // 0000000047B0: 0AA4F552
	v_mul_f32_e32 v83, v83, v123                               // 0000000047B4: 0AA6F753
	v_pk_mul_f32 v[4:5], v[84:85], v[84:85]                    // 0000000047B8: D3B14004 1802A954
	v_pk_mul_f32 v[6:7], v[86:87], v[86:87]                    // 0000000047C0: D3B14006 1802AD56
	v_pk_fma_f32 v[4:5], v[4:5], s[78:79], v[8:9]              // 0000000047C8: D3B04004 1C209D04
	v_pk_fma_f32 v[6:7], v[6:7], s[78:79], v[8:9]              // 0000000047D0: D3B04006 1C209D06
	v_pk_mul_f32 v[4:5], v[4:5], v[84:85]                      // 0000000047D8: D3B14004 1802A904
	v_pk_mul_f32 v[6:7], v[6:7], v[86:87]                      // 0000000047E0: D3B14006 1802AD06
	v_pk_mul_f32 v[4:5], v[4:5], s[60:61]                      // 0000000047E8: D3B14004 18007904
	v_pk_mul_f32 v[6:7], v[6:7], s[60:61]                      // 0000000047F0: D3B14006 18007906
	v_exp_f32_e32 v4, v4                                       // 0000000047F8: 7E084104
	v_exp_f32_e32 v5, v5                                       // 0000000047FC: 7E0A4105
	v_exp_f32_e32 v6, v6                                       // 000000004800: 7E0C4106
	v_exp_f32_e32 v7, v7                                       // 000000004804: 7E0E4107
	v_add_f32_e64 v4, v4, 1.0                                  // 000000004808: D1010004 0001E504
	v_add_f32_e64 v5, v5, 1.0                                  // 000000004810: D1010005 0001E505
	v_add_f32_e64 v6, v6, 1.0                                  // 000000004818: D1010006 0001E506
	v_add_f32_e64 v7, v7, 1.0                                  // 000000004820: D1010007 0001E507
	v_rcp_f32_e32 v4, v4                                       // 000000004828: 7E084504
	v_rcp_f32_e32 v5, v5                                       // 00000000482C: 7E0A4505
	v_rcp_f32_e32 v6, v6                                       // 000000004830: 7E0C4506
	v_rcp_f32_e32 v7, v7                                       // 000000004834: 7E0E4507
	v_mul_f32_e32 v84, v84, v4                                 // 000000004838: 0AA80954
	v_mul_f32_e32 v85, v85, v5                                 // 00000000483C: 0AAA0B55
	v_mul_f32_e32 v86, v86, v6                                 // 000000004840: 0AAC0D56
	v_mul_f32_e32 v87, v87, v7                                 // 000000004844: 0AAE0F57
	v_mul_f32_e32 v84, v84, v124                               // 000000004848: 0AA8F954
	v_mul_f32_e32 v85, v85, v125                               // 00000000484C: 0AAAFB55
	v_mul_f32_e32 v86, v86, v126                               // 000000004850: 0AACFD56
	v_mul_f32_e32 v87, v87, v127                               // 000000004854: 0AAEFF57
	v_pk_mul_f32 v[4:5], v[88:89], v[88:89]                    // 000000004858: D3B14004 1802B158
	v_pk_mul_f32 v[6:7], v[90:91], v[90:91]                    // 000000004860: D3B14006 1802B55A
	v_pk_fma_f32 v[4:5], v[4:5], s[78:79], v[8:9]              // 000000004868: D3B04004 1C209D04
	v_pk_fma_f32 v[6:7], v[6:7], s[78:79], v[8:9]              // 000000004870: D3B04006 1C209D06
	v_pk_mul_f32 v[4:5], v[4:5], v[88:89]                      // 000000004878: D3B14004 1802B104
	v_pk_mul_f32 v[6:7], v[6:7], v[90:91]                      // 000000004880: D3B14006 1802B506
	v_pk_mul_f32 v[4:5], v[4:5], s[60:61]                      // 000000004888: D3B14004 18007904
	v_pk_mul_f32 v[6:7], v[6:7], s[60:61]                      // 000000004890: D3B14006 18007906
	v_exp_f32_e32 v4, v4                                       // 000000004898: 7E084104
	v_exp_f32_e32 v5, v5                                       // 00000000489C: 7E0A4105
	v_exp_f32_e32 v6, v6                                       // 0000000048A0: 7E0C4106
	v_exp_f32_e32 v7, v7                                       // 0000000048A4: 7E0E4107
	v_add_f32_e64 v4, v4, 1.0                                  // 0000000048A8: D1010004 0001E504
	v_add_f32_e64 v5, v5, 1.0                                  // 0000000048B0: D1010005 0001E505
	v_add_f32_e64 v6, v6, 1.0                                  // 0000000048B8: D1010006 0001E506
	v_add_f32_e64 v7, v7, 1.0                                  // 0000000048C0: D1010007 0001E507
	v_rcp_f32_e32 v4, v4                                       // 0000000048C8: 7E084504
	v_rcp_f32_e32 v5, v5                                       // 0000000048CC: 7E0A4505
	v_rcp_f32_e32 v6, v6                                       // 0000000048D0: 7E0C4506
	v_rcp_f32_e32 v7, v7                                       // 0000000048D4: 7E0E4507
	v_mul_f32_e32 v88, v88, v4                                 // 0000000048D8: 0AB00958
	v_mul_f32_e32 v89, v89, v5                                 // 0000000048DC: 0AB20B59
	v_mul_f32_e32 v90, v90, v6                                 // 0000000048E0: 0AB40D5A
	v_mul_f32_e32 v91, v91, v7                                 // 0000000048E4: 0AB60F5B
	v_mul_f32_e32 v88, v88, v128                               // 0000000048E8: 0AB10158
	v_mul_f32_e32 v89, v89, v129                               // 0000000048EC: 0AB30359
	v_mul_f32_e32 v90, v90, v130                               // 0000000048F0: 0AB5055A
	v_mul_f32_e32 v91, v91, v131                               // 0000000048F4: 0AB7075B
	v_pk_mul_f32 v[4:5], v[92:93], v[92:93]                    // 0000000048F8: D3B14004 1802B95C
	v_pk_mul_f32 v[6:7], v[94:95], v[94:95]                    // 000000004900: D3B14006 1802BD5E
	v_pk_fma_f32 v[4:5], v[4:5], s[78:79], v[8:9]              // 000000004908: D3B04004 1C209D04
	v_pk_fma_f32 v[6:7], v[6:7], s[78:79], v[8:9]              // 000000004910: D3B04006 1C209D06
	v_pk_mul_f32 v[4:5], v[4:5], v[92:93]                      // 000000004918: D3B14004 1802B904
	v_pk_mul_f32 v[6:7], v[6:7], v[94:95]                      // 000000004920: D3B14006 1802BD06
	v_pk_mul_f32 v[4:5], v[4:5], s[60:61]                      // 000000004928: D3B14004 18007904
	v_pk_mul_f32 v[6:7], v[6:7], s[60:61]                      // 000000004930: D3B14006 18007906
	v_exp_f32_e32 v4, v4                                       // 000000004938: 7E084104
	v_exp_f32_e32 v5, v5                                       // 00000000493C: 7E0A4105
	v_exp_f32_e32 v6, v6                                       // 000000004940: 7E0C4106
	v_exp_f32_e32 v7, v7                                       // 000000004944: 7E0E4107
	v_add_f32_e64 v4, v4, 1.0                                  // 000000004948: D1010004 0001E504
	v_add_f32_e64 v5, v5, 1.0                                  // 000000004950: D1010005 0001E505
	v_add_f32_e64 v6, v6, 1.0                                  // 000000004958: D1010006 0001E506
	v_add_f32_e64 v7, v7, 1.0                                  // 000000004960: D1010007 0001E507
	v_rcp_f32_e32 v4, v4                                       // 000000004968: 7E084504
	v_rcp_f32_e32 v5, v5                                       // 00000000496C: 7E0A4505
	v_rcp_f32_e32 v6, v6                                       // 000000004970: 7E0C4506
	v_rcp_f32_e32 v7, v7                                       // 000000004974: 7E0E4507
	v_mul_f32_e32 v92, v92, v4                                 // 000000004978: 0AB8095C
	v_mul_f32_e32 v93, v93, v5                                 // 00000000497C: 0ABA0B5D
	v_mul_f32_e32 v94, v94, v6                                 // 000000004980: 0ABC0D5E
	v_mul_f32_e32 v95, v95, v7                                 // 000000004984: 0ABE0F5F
	v_mul_f32_e32 v92, v92, v132                               // 000000004988: 0AB9095C
	v_mul_f32_e32 v93, v93, v133                               // 00000000498C: 0ABB0B5D
	v_mul_f32_e32 v94, v94, v134                               // 000000004990: 0ABD0D5E
	v_mul_f32_e32 v95, v95, v135                               // 000000004994: 0ABF0F5F
	v_pk_mul_f32 v[4:5], v[96:97], v[96:97]                    // 000000004998: D3B14004 1802C160
	v_pk_mul_f32 v[6:7], v[98:99], v[98:99]                    // 0000000049A0: D3B14006 1802C562
	v_pk_fma_f32 v[4:5], v[4:5], s[78:79], v[8:9]              // 0000000049A8: D3B04004 1C209D04
	v_pk_fma_f32 v[6:7], v[6:7], s[78:79], v[8:9]              // 0000000049B0: D3B04006 1C209D06
	v_pk_mul_f32 v[4:5], v[4:5], v[96:97]                      // 0000000049B8: D3B14004 1802C104
	v_pk_mul_f32 v[6:7], v[6:7], v[98:99]                      // 0000000049C0: D3B14006 1802C506
	v_pk_mul_f32 v[4:5], v[4:5], s[60:61]                      // 0000000049C8: D3B14004 18007904
	v_pk_mul_f32 v[6:7], v[6:7], s[60:61]                      // 0000000049D0: D3B14006 18007906
	v_exp_f32_e32 v4, v4                                       // 0000000049D8: 7E084104
	v_exp_f32_e32 v5, v5                                       // 0000000049DC: 7E0A4105
	v_exp_f32_e32 v6, v6                                       // 0000000049E0: 7E0C4106
	v_exp_f32_e32 v7, v7                                       // 0000000049E4: 7E0E4107
	v_add_f32_e64 v4, v4, 1.0                                  // 0000000049E8: D1010004 0001E504
	v_add_f32_e64 v5, v5, 1.0                                  // 0000000049F0: D1010005 0001E505
	v_add_f32_e64 v6, v6, 1.0                                  // 0000000049F8: D1010006 0001E506
	v_add_f32_e64 v7, v7, 1.0                                  // 000000004A00: D1010007 0001E507
	v_rcp_f32_e32 v4, v4                                       // 000000004A08: 7E084504
	v_rcp_f32_e32 v5, v5                                       // 000000004A0C: 7E0A4505
	v_rcp_f32_e32 v6, v6                                       // 000000004A10: 7E0C4506
	v_rcp_f32_e32 v7, v7                                       // 000000004A14: 7E0E4507
	v_mul_f32_e32 v96, v96, v4                                 // 000000004A18: 0AC00960
	v_mul_f32_e32 v97, v97, v5                                 // 000000004A1C: 0AC20B61
	v_mul_f32_e32 v98, v98, v6                                 // 000000004A20: 0AC40D62
	v_mul_f32_e32 v99, v99, v7                                 // 000000004A24: 0AC60F63
	v_mul_f32_e32 v96, v96, v136                               // 000000004A28: 0AC11160
	v_mul_f32_e32 v97, v97, v137                               // 000000004A2C: 0AC31361
	v_mul_f32_e32 v98, v98, v138                               // 000000004A30: 0AC51562
	v_mul_f32_e32 v99, v99, v139                               // 000000004A34: 0AC71763
	s_branch label_094F                                        // 000000004A38: BF820140

0000000000004a3c <label_080F>:
	v_mul_f32_e64 v4, -v60, s6                                 // 000000004A3C: D1050004 20000D3C
	v_mul_f32_e64 v5, -v61, s6                                 // 000000004A44: D1050005 20000D3D
	v_mul_f32_e64 v6, -v62, s6                                 // 000000004A4C: D1050006 20000D3E
	v_mul_f32_e64 v7, -v63, s6                                 // 000000004A54: D1050007 20000D3F
	v_exp_f32_e32 v4, v4                                       // 000000004A5C: 7E084104
	v_exp_f32_e32 v5, v5                                       // 000000004A60: 7E0A4105
	v_exp_f32_e32 v6, v6                                       // 000000004A64: 7E0C4106
	v_exp_f32_e32 v7, v7                                       // 000000004A68: 7E0E4107
	v_add_f32_e64 v4, v4, 1.0                                  // 000000004A6C: D1010004 0001E504
	v_add_f32_e64 v5, v5, 1.0                                  // 000000004A74: D1010005 0001E505
	v_add_f32_e64 v6, v6, 1.0                                  // 000000004A7C: D1010006 0001E506
	v_add_f32_e64 v7, v7, 1.0                                  // 000000004A84: D1010007 0001E507
	v_rcp_f32_e32 v4, v4                                       // 000000004A8C: 7E084504
	v_rcp_f32_e32 v5, v5                                       // 000000004A90: 7E0A4505
	v_rcp_f32_e32 v6, v6                                       // 000000004A94: 7E0C4506
	v_rcp_f32_e32 v7, v7                                       // 000000004A98: 7E0E4507
	v_mul_f32_e32 v60, v60, v4                                 // 000000004A9C: 0A78093C
	v_mul_f32_e32 v61, v61, v5                                 // 000000004AA0: 0A7A0B3D
	v_mul_f32_e32 v62, v62, v6                                 // 000000004AA4: 0A7C0D3E
	v_mul_f32_e32 v63, v63, v7                                 // 000000004AA8: 0A7E0F3F
	v_mul_f32_e32 v60, v60, v100                               // 000000004AAC: 0A78C93C
	v_mul_f32_e32 v61, v61, v101                               // 000000004AB0: 0A7ACB3D
	v_mul_f32_e32 v62, v62, v102                               // 000000004AB4: 0A7CCD3E
	v_mul_f32_e32 v63, v63, v103                               // 000000004AB8: 0A7ECF3F
	v_mul_f32_e64 v4, -v64, s6                                 // 000000004ABC: D1050004 20000D40
	v_mul_f32_e64 v5, -v65, s6                                 // 000000004AC4: D1050005 20000D41
	v_mul_f32_e64 v6, -v66, s6                                 // 000000004ACC: D1050006 20000D42
	v_mul_f32_e64 v7, -v67, s6                                 // 000000004AD4: D1050007 20000D43
	v_exp_f32_e32 v4, v4                                       // 000000004ADC: 7E084104
	v_exp_f32_e32 v5, v5                                       // 000000004AE0: 7E0A4105
	v_exp_f32_e32 v6, v6                                       // 000000004AE4: 7E0C4106
	v_exp_f32_e32 v7, v7                                       // 000000004AE8: 7E0E4107
	v_add_f32_e64 v4, v4, 1.0                                  // 000000004AEC: D1010004 0001E504
	v_add_f32_e64 v5, v5, 1.0                                  // 000000004AF4: D1010005 0001E505
	v_add_f32_e64 v6, v6, 1.0                                  // 000000004AFC: D1010006 0001E506
	v_add_f32_e64 v7, v7, 1.0                                  // 000000004B04: D1010007 0001E507
	v_rcp_f32_e32 v4, v4                                       // 000000004B0C: 7E084504
	v_rcp_f32_e32 v5, v5                                       // 000000004B10: 7E0A4505
	v_rcp_f32_e32 v6, v6                                       // 000000004B14: 7E0C4506
	v_rcp_f32_e32 v7, v7                                       // 000000004B18: 7E0E4507
	v_mul_f32_e32 v64, v64, v4                                 // 000000004B1C: 0A800940
	v_mul_f32_e32 v65, v65, v5                                 // 000000004B20: 0A820B41
	v_mul_f32_e32 v66, v66, v6                                 // 000000004B24: 0A840D42
	v_mul_f32_e32 v67, v67, v7                                 // 000000004B28: 0A860F43
	v_mul_f32_e32 v64, v64, v104                               // 000000004B2C: 0A80D140
	v_mul_f32_e32 v65, v65, v105                               // 000000004B30: 0A82D341
	v_mul_f32_e32 v66, v66, v106                               // 000000004B34: 0A84D542
	v_mul_f32_e32 v67, v67, v107                               // 000000004B38: 0A86D743
	v_mul_f32_e64 v4, -v68, s6                                 // 000000004B3C: D1050004 20000D44
	v_mul_f32_e64 v5, -v69, s6                                 // 000000004B44: D1050005 20000D45
	v_mul_f32_e64 v6, -v70, s6                                 // 000000004B4C: D1050006 20000D46
	v_mul_f32_e64 v7, -v71, s6                                 // 000000004B54: D1050007 20000D47
	v_exp_f32_e32 v4, v4                                       // 000000004B5C: 7E084104
	v_exp_f32_e32 v5, v5                                       // 000000004B60: 7E0A4105
	v_exp_f32_e32 v6, v6                                       // 000000004B64: 7E0C4106
	v_exp_f32_e32 v7, v7                                       // 000000004B68: 7E0E4107
	v_add_f32_e64 v4, v4, 1.0                                  // 000000004B6C: D1010004 0001E504
	v_add_f32_e64 v5, v5, 1.0                                  // 000000004B74: D1010005 0001E505
	v_add_f32_e64 v6, v6, 1.0                                  // 000000004B7C: D1010006 0001E506
	v_add_f32_e64 v7, v7, 1.0                                  // 000000004B84: D1010007 0001E507
	v_rcp_f32_e32 v4, v4                                       // 000000004B8C: 7E084504
	v_rcp_f32_e32 v5, v5                                       // 000000004B90: 7E0A4505
	v_rcp_f32_e32 v6, v6                                       // 000000004B94: 7E0C4506
	v_rcp_f32_e32 v7, v7                                       // 000000004B98: 7E0E4507
	v_mul_f32_e32 v68, v68, v4                                 // 000000004B9C: 0A880944
	v_mul_f32_e32 v69, v69, v5                                 // 000000004BA0: 0A8A0B45
	v_mul_f32_e32 v70, v70, v6                                 // 000000004BA4: 0A8C0D46
	v_mul_f32_e32 v71, v71, v7                                 // 000000004BA8: 0A8E0F47
	v_mul_f32_e32 v68, v68, v108                               // 000000004BAC: 0A88D944
	v_mul_f32_e32 v69, v69, v109                               // 000000004BB0: 0A8ADB45
	v_mul_f32_e32 v70, v70, v110                               // 000000004BB4: 0A8CDD46
	v_mul_f32_e32 v71, v71, v111                               // 000000004BB8: 0A8EDF47
	v_mul_f32_e64 v4, -v72, s6                                 // 000000004BBC: D1050004 20000D48
	v_mul_f32_e64 v5, -v73, s6                                 // 000000004BC4: D1050005 20000D49
	v_mul_f32_e64 v6, -v74, s6                                 // 000000004BCC: D1050006 20000D4A
	v_mul_f32_e64 v7, -v75, s6                                 // 000000004BD4: D1050007 20000D4B
	v_exp_f32_e32 v4, v4                                       // 000000004BDC: 7E084104
	v_exp_f32_e32 v5, v5                                       // 000000004BE0: 7E0A4105
	v_exp_f32_e32 v6, v6                                       // 000000004BE4: 7E0C4106
	v_exp_f32_e32 v7, v7                                       // 000000004BE8: 7E0E4107
	v_add_f32_e64 v4, v4, 1.0                                  // 000000004BEC: D1010004 0001E504
	v_add_f32_e64 v5, v5, 1.0                                  // 000000004BF4: D1010005 0001E505
	v_add_f32_e64 v6, v6, 1.0                                  // 000000004BFC: D1010006 0001E506
	v_add_f32_e64 v7, v7, 1.0                                  // 000000004C04: D1010007 0001E507
	v_rcp_f32_e32 v4, v4                                       // 000000004C0C: 7E084504
	v_rcp_f32_e32 v5, v5                                       // 000000004C10: 7E0A4505
	v_rcp_f32_e32 v6, v6                                       // 000000004C14: 7E0C4506
	v_rcp_f32_e32 v7, v7                                       // 000000004C18: 7E0E4507
	v_mul_f32_e32 v72, v72, v4                                 // 000000004C1C: 0A900948
	v_mul_f32_e32 v73, v73, v5                                 // 000000004C20: 0A920B49
	v_mul_f32_e32 v74, v74, v6                                 // 000000004C24: 0A940D4A
	v_mul_f32_e32 v75, v75, v7                                 // 000000004C28: 0A960F4B
	v_mul_f32_e32 v72, v72, v112                               // 000000004C2C: 0A90E148
	v_mul_f32_e32 v73, v73, v113                               // 000000004C30: 0A92E349
	v_mul_f32_e32 v74, v74, v114                               // 000000004C34: 0A94E54A
	v_mul_f32_e32 v75, v75, v115                               // 000000004C38: 0A96E74B
	v_mul_f32_e64 v4, -v76, s6                                 // 000000004C3C: D1050004 20000D4C
	v_mul_f32_e64 v5, -v77, s6                                 // 000000004C44: D1050005 20000D4D
	v_mul_f32_e64 v6, -v78, s6                                 // 000000004C4C: D1050006 20000D4E
	v_mul_f32_e64 v7, -v79, s6                                 // 000000004C54: D1050007 20000D4F
	v_exp_f32_e32 v4, v4                                       // 000000004C5C: 7E084104
	v_exp_f32_e32 v5, v5                                       // 000000004C60: 7E0A4105
	v_exp_f32_e32 v6, v6                                       // 000000004C64: 7E0C4106
	v_exp_f32_e32 v7, v7                                       // 000000004C68: 7E0E4107
	v_add_f32_e64 v4, v4, 1.0                                  // 000000004C6C: D1010004 0001E504
	v_add_f32_e64 v5, v5, 1.0                                  // 000000004C74: D1010005 0001E505
	v_add_f32_e64 v6, v6, 1.0                                  // 000000004C7C: D1010006 0001E506
	v_add_f32_e64 v7, v7, 1.0                                  // 000000004C84: D1010007 0001E507
	v_rcp_f32_e32 v4, v4                                       // 000000004C8C: 7E084504
	v_rcp_f32_e32 v5, v5                                       // 000000004C90: 7E0A4505
	v_rcp_f32_e32 v6, v6                                       // 000000004C94: 7E0C4506
	v_rcp_f32_e32 v7, v7                                       // 000000004C98: 7E0E4507
	v_mul_f32_e32 v76, v76, v4                                 // 000000004C9C: 0A98094C
	v_mul_f32_e32 v77, v77, v5                                 // 000000004CA0: 0A9A0B4D
	v_mul_f32_e32 v78, v78, v6                                 // 000000004CA4: 0A9C0D4E
	v_mul_f32_e32 v79, v79, v7                                 // 000000004CA8: 0A9E0F4F
	v_mul_f32_e32 v76, v76, v116                               // 000000004CAC: 0A98E94C
	v_mul_f32_e32 v77, v77, v117                               // 000000004CB0: 0A9AEB4D
	v_mul_f32_e32 v78, v78, v118                               // 000000004CB4: 0A9CED4E
	v_mul_f32_e32 v79, v79, v119                               // 000000004CB8: 0A9EEF4F
	v_mul_f32_e64 v4, -v80, s6                                 // 000000004CBC: D1050004 20000D50
	v_mul_f32_e64 v5, -v81, s6                                 // 000000004CC4: D1050005 20000D51
	v_mul_f32_e64 v6, -v82, s6                                 // 000000004CCC: D1050006 20000D52
	v_mul_f32_e64 v7, -v83, s6                                 // 000000004CD4: D1050007 20000D53
	v_exp_f32_e32 v4, v4                                       // 000000004CDC: 7E084104
	v_exp_f32_e32 v5, v5                                       // 000000004CE0: 7E0A4105
	v_exp_f32_e32 v6, v6                                       // 000000004CE4: 7E0C4106
	v_exp_f32_e32 v7, v7                                       // 000000004CE8: 7E0E4107
	v_add_f32_e64 v4, v4, 1.0                                  // 000000004CEC: D1010004 0001E504
	v_add_f32_e64 v5, v5, 1.0                                  // 000000004CF4: D1010005 0001E505
	v_add_f32_e64 v6, v6, 1.0                                  // 000000004CFC: D1010006 0001E506
	v_add_f32_e64 v7, v7, 1.0                                  // 000000004D04: D1010007 0001E507
	v_rcp_f32_e32 v4, v4                                       // 000000004D0C: 7E084504
	v_rcp_f32_e32 v5, v5                                       // 000000004D10: 7E0A4505
	v_rcp_f32_e32 v6, v6                                       // 000000004D14: 7E0C4506
	v_rcp_f32_e32 v7, v7                                       // 000000004D18: 7E0E4507
	v_mul_f32_e32 v80, v80, v4                                 // 000000004D1C: 0AA00950
	v_mul_f32_e32 v81, v81, v5                                 // 000000004D20: 0AA20B51
	v_mul_f32_e32 v82, v82, v6                                 // 000000004D24: 0AA40D52
	v_mul_f32_e32 v83, v83, v7                                 // 000000004D28: 0AA60F53
	v_mul_f32_e32 v80, v80, v120                               // 000000004D2C: 0AA0F150
	v_mul_f32_e32 v81, v81, v121                               // 000000004D30: 0AA2F351
	v_mul_f32_e32 v82, v82, v122                               // 000000004D34: 0AA4F552
	v_mul_f32_e32 v83, v83, v123                               // 000000004D38: 0AA6F753
	v_mul_f32_e64 v4, -v84, s6                                 // 000000004D3C: D1050004 20000D54
	v_mul_f32_e64 v5, -v85, s6                                 // 000000004D44: D1050005 20000D55
	v_mul_f32_e64 v6, -v86, s6                                 // 000000004D4C: D1050006 20000D56
	v_mul_f32_e64 v7, -v87, s6                                 // 000000004D54: D1050007 20000D57
	v_exp_f32_e32 v4, v4                                       // 000000004D5C: 7E084104
	v_exp_f32_e32 v5, v5                                       // 000000004D60: 7E0A4105
	v_exp_f32_e32 v6, v6                                       // 000000004D64: 7E0C4106
	v_exp_f32_e32 v7, v7                                       // 000000004D68: 7E0E4107
	v_add_f32_e64 v4, v4, 1.0                                  // 000000004D6C: D1010004 0001E504
	v_add_f32_e64 v5, v5, 1.0                                  // 000000004D74: D1010005 0001E505
	v_add_f32_e64 v6, v6, 1.0                                  // 000000004D7C: D1010006 0001E506
	v_add_f32_e64 v7, v7, 1.0                                  // 000000004D84: D1010007 0001E507
	v_rcp_f32_e32 v4, v4                                       // 000000004D8C: 7E084504
	v_rcp_f32_e32 v5, v5                                       // 000000004D90: 7E0A4505
	v_rcp_f32_e32 v6, v6                                       // 000000004D94: 7E0C4506
	v_rcp_f32_e32 v7, v7                                       // 000000004D98: 7E0E4507
	v_mul_f32_e32 v84, v84, v4                                 // 000000004D9C: 0AA80954
	v_mul_f32_e32 v85, v85, v5                                 // 000000004DA0: 0AAA0B55
	v_mul_f32_e32 v86, v86, v6                                 // 000000004DA4: 0AAC0D56
	v_mul_f32_e32 v87, v87, v7                                 // 000000004DA8: 0AAE0F57
	v_mul_f32_e32 v84, v84, v124                               // 000000004DAC: 0AA8F954
	v_mul_f32_e32 v85, v85, v125                               // 000000004DB0: 0AAAFB55
	v_mul_f32_e32 v86, v86, v126                               // 000000004DB4: 0AACFD56
	v_mul_f32_e32 v87, v87, v127                               // 000000004DB8: 0AAEFF57
	v_mul_f32_e64 v4, -v88, s6                                 // 000000004DBC: D1050004 20000D58
	v_mul_f32_e64 v5, -v89, s6                                 // 000000004DC4: D1050005 20000D59
	v_mul_f32_e64 v6, -v90, s6                                 // 000000004DCC: D1050006 20000D5A
	v_mul_f32_e64 v7, -v91, s6                                 // 000000004DD4: D1050007 20000D5B
	v_exp_f32_e32 v4, v4                                       // 000000004DDC: 7E084104
	v_exp_f32_e32 v5, v5                                       // 000000004DE0: 7E0A4105
	v_exp_f32_e32 v6, v6                                       // 000000004DE4: 7E0C4106
	v_exp_f32_e32 v7, v7                                       // 000000004DE8: 7E0E4107
	v_add_f32_e64 v4, v4, 1.0                                  // 000000004DEC: D1010004 0001E504
	v_add_f32_e64 v5, v5, 1.0                                  // 000000004DF4: D1010005 0001E505
	v_add_f32_e64 v6, v6, 1.0                                  // 000000004DFC: D1010006 0001E506
	v_add_f32_e64 v7, v7, 1.0                                  // 000000004E04: D1010007 0001E507
	v_rcp_f32_e32 v4, v4                                       // 000000004E0C: 7E084504
	v_rcp_f32_e32 v5, v5                                       // 000000004E10: 7E0A4505
	v_rcp_f32_e32 v6, v6                                       // 000000004E14: 7E0C4506
	v_rcp_f32_e32 v7, v7                                       // 000000004E18: 7E0E4507
	v_mul_f32_e32 v88, v88, v4                                 // 000000004E1C: 0AB00958
	v_mul_f32_e32 v89, v89, v5                                 // 000000004E20: 0AB20B59
	v_mul_f32_e32 v90, v90, v6                                 // 000000004E24: 0AB40D5A
	v_mul_f32_e32 v91, v91, v7                                 // 000000004E28: 0AB60F5B
	v_mul_f32_e32 v88, v88, v128                               // 000000004E2C: 0AB10158
	v_mul_f32_e32 v89, v89, v129                               // 000000004E30: 0AB30359
	v_mul_f32_e32 v90, v90, v130                               // 000000004E34: 0AB5055A
	v_mul_f32_e32 v91, v91, v131                               // 000000004E38: 0AB7075B
	v_mul_f32_e64 v4, -v92, s6                                 // 000000004E3C: D1050004 20000D5C
	v_mul_f32_e64 v5, -v93, s6                                 // 000000004E44: D1050005 20000D5D
	v_mul_f32_e64 v6, -v94, s6                                 // 000000004E4C: D1050006 20000D5E
	v_mul_f32_e64 v7, -v95, s6                                 // 000000004E54: D1050007 20000D5F
	v_exp_f32_e32 v4, v4                                       // 000000004E5C: 7E084104
	v_exp_f32_e32 v5, v5                                       // 000000004E60: 7E0A4105
	v_exp_f32_e32 v6, v6                                       // 000000004E64: 7E0C4106
	v_exp_f32_e32 v7, v7                                       // 000000004E68: 7E0E4107
	v_add_f32_e64 v4, v4, 1.0                                  // 000000004E6C: D1010004 0001E504
	v_add_f32_e64 v5, v5, 1.0                                  // 000000004E74: D1010005 0001E505
	v_add_f32_e64 v6, v6, 1.0                                  // 000000004E7C: D1010006 0001E506
	v_add_f32_e64 v7, v7, 1.0                                  // 000000004E84: D1010007 0001E507
	v_rcp_f32_e32 v4, v4                                       // 000000004E8C: 7E084504
	v_rcp_f32_e32 v5, v5                                       // 000000004E90: 7E0A4505
	v_rcp_f32_e32 v6, v6                                       // 000000004E94: 7E0C4506
	v_rcp_f32_e32 v7, v7                                       // 000000004E98: 7E0E4507
	v_mul_f32_e32 v92, v92, v4                                 // 000000004E9C: 0AB8095C
	v_mul_f32_e32 v93, v93, v5                                 // 000000004EA0: 0ABA0B5D
	v_mul_f32_e32 v94, v94, v6                                 // 000000004EA4: 0ABC0D5E
	v_mul_f32_e32 v95, v95, v7                                 // 000000004EA8: 0ABE0F5F
	v_mul_f32_e32 v92, v92, v132                               // 000000004EAC: 0AB9095C
	v_mul_f32_e32 v93, v93, v133                               // 000000004EB0: 0ABB0B5D
	v_mul_f32_e32 v94, v94, v134                               // 000000004EB4: 0ABD0D5E
	v_mul_f32_e32 v95, v95, v135                               // 000000004EB8: 0ABF0F5F
	v_mul_f32_e64 v4, -v96, s6                                 // 000000004EBC: D1050004 20000D60
	v_mul_f32_e64 v5, -v97, s6                                 // 000000004EC4: D1050005 20000D61
	v_mul_f32_e64 v6, -v98, s6                                 // 000000004ECC: D1050006 20000D62
	v_mul_f32_e64 v7, -v99, s6                                 // 000000004ED4: D1050007 20000D63
	v_exp_f32_e32 v4, v4                                       // 000000004EDC: 7E084104
	v_exp_f32_e32 v5, v5                                       // 000000004EE0: 7E0A4105
	v_exp_f32_e32 v6, v6                                       // 000000004EE4: 7E0C4106
	v_exp_f32_e32 v7, v7                                       // 000000004EE8: 7E0E4107
	v_add_f32_e64 v4, v4, 1.0                                  // 000000004EEC: D1010004 0001E504
	v_add_f32_e64 v5, v5, 1.0                                  // 000000004EF4: D1010005 0001E505
	v_add_f32_e64 v6, v6, 1.0                                  // 000000004EFC: D1010006 0001E506
	v_add_f32_e64 v7, v7, 1.0                                  // 000000004F04: D1010007 0001E507
	v_rcp_f32_e32 v4, v4                                       // 000000004F0C: 7E084504
	v_rcp_f32_e32 v5, v5                                       // 000000004F10: 7E0A4505
	v_rcp_f32_e32 v6, v6                                       // 000000004F14: 7E0C4506
	v_rcp_f32_e32 v7, v7                                       // 000000004F18: 7E0E4507
	v_mul_f32_e32 v96, v96, v4                                 // 000000004F1C: 0AC00960
	v_mul_f32_e32 v97, v97, v5                                 // 000000004F20: 0AC20B61
	v_mul_f32_e32 v98, v98, v6                                 // 000000004F24: 0AC40D62
	v_mul_f32_e32 v99, v99, v7                                 // 000000004F28: 0AC60F63
	v_mul_f32_e32 v96, v96, v136                               // 000000004F2C: 0AC11160
	v_mul_f32_e32 v97, v97, v137                               // 000000004F30: 0AC31361
	v_mul_f32_e32 v98, v98, v138                               // 000000004F34: 0AC51562
	v_mul_f32_e32 v99, v99, v139                               // 000000004F38: 0AC71763

0000000000004f3c <label_094F>:
	s_cmp_eq_u32 s7, 0                                         // 000000004F3C: BF068007
	s_cbranch_scc0 label_0962                                  // 000000004F40: BF840011
	v_and_b32_e32 v4, 15, v0                                   // 000000004F44: 2608008F
	v_lshlrev_b32_e32 v4, 2, v4                                // 000000004F48: 24080882
	buffer_load_dword v28, v4, s[12:15], 0 offen               // 000000004F4C: E0501000 80031C04
	v_add_u32_e32 v4, 64, v4                                   // 000000004F54: 680808C0
	buffer_load_dword v29, v4, s[12:15], 0 offen               // 000000004F58: E0501000 80031D04
	v_add_u32_e32 v4, 64, v4                                   // 000000004F60: 680808C0
	buffer_load_dword v30, v4, s[12:15], 0 offen               // 000000004F64: E0501000 80031E04
	v_add_u32_e32 v4, 64, v4                                   // 000000004F6C: 680808C0
	buffer_load_dword v31, v4, s[12:15], 0 offen               // 000000004F70: E0501000 80031F04
	v_add_u32_e32 v4, 64, v4                                   // 000000004F78: 680808C0
	buffer_load_dword v32, v4, s[12:15], 0 offen               // 000000004F7C: E0501000 80032004
	v_add_u32_e32 v4, 64, v4                                   // 000000004F84: 680808C0

0000000000004f88 <label_0962>:
	v_lshlrev_b32_e32 v4, 2, v0                                // 000000004F88: 24080082
	s_mul_i32 s60, 0x100, s7                                   // 000000004F8C: 923C07FF 00000100
	v_add_u32_e32 v105, s60, v4                                // 000000004F94: 68D2083C
	v_and_b32_e32 v4, 15, v0                                   // 000000004F98: 2608008F
	v_lshlrev_b32_e32 v106, 2, v4                              // 000000004F9C: 24D40882
	s_waitcnt lgkmcnt(0)                                       // 000000004FA0: BF8CC07F
	s_barrier                                                  // 000000004FA4: BF8A0000
	v_mov_b32_e32 v100, 0x358637bd                             // 000000004FA8: 7EC802FF 358637BD
	v_max3_f32 v100, |v60|, |v61|, v100                        // 000000004FB0: D1D30364 05927B3C
	v_max3_f32 v100, |v62|, |v63|, v100                        // 000000004FB8: D1D30364 05927F3E
	v_max3_f32 v100, |v80|, |v81|, v100                        // 000000004FC0: D1D30364 0592A350
	v_max3_f32 v100, |v82|, |v83|, v100                        // 000000004FC8: D1D30364 0592A752
	ds_write_b32 v105, v100                                    // 000000004FD0: D81A0000 00006469
	s_waitcnt lgkmcnt(0)                                       // 000000004FD8: BF8CC07F
	s_barrier                                                  // 000000004FDC: BF8A0000
	ds_read_b32 v4, v106                                       // 000000004FE0: D86C0000 0400006A
	ds_read_b32 v5, v106 offset:64                             // 000000004FE8: D86C0040 0500006A
	ds_read_b32 v6, v106 offset:128                            // 000000004FF0: D86C0080 0600006A
	ds_read_b32 v7, v106 offset:192                            // 000000004FF8: D86C00C0 0700006A
	ds_read_b32 v8, v106 offset:256                            // 000000005000: D86C0100 0800006A
	ds_read_b32 v9, v106 offset:320                            // 000000005008: D86C0140 0900006A
	ds_read_b32 v10, v106 offset:384                           // 000000005010: D86C0180 0A00006A
	ds_read_b32 v11, v106 offset:448                           // 000000005018: D86C01C0 0B00006A
	ds_read_b32 v12, v106 offset:512                           // 000000005020: D86C0200 0C00006A
	ds_read_b32 v13, v106 offset:576                           // 000000005028: D86C0240 0D00006A
	ds_read_b32 v14, v106 offset:640                           // 000000005030: D86C0280 0E00006A
	ds_read_b32 v15, v106 offset:704                           // 000000005038: D86C02C0 0F00006A
	ds_read_b32 v16, v106 offset:768                           // 000000005040: D86C0300 1000006A
	ds_read_b32 v17, v106 offset:832                           // 000000005048: D86C0340 1100006A
	ds_read_b32 v18, v106 offset:896                           // 000000005050: D86C0380 1200006A
	ds_read_b32 v19, v106 offset:960                           // 000000005058: D86C03C0 1300006A
	s_waitcnt lgkmcnt(0)                                       // 000000005060: BF8CC07F
	s_barrier                                                  // 000000005064: BF8A0000
	v_max3_f32 v100, |v4|, |v5|, v100                          // 000000005068: D1D30364 05920B04
	v_max3_f32 v100, |v6|, |v7|, v100                          // 000000005070: D1D30364 05920F06
	v_max3_f32 v100, |v8|, |v9|, v100                          // 000000005078: D1D30364 05921308
	v_max3_f32 v100, |v10|, |v11|, v100                        // 000000005080: D1D30364 0592170A
	v_max3_f32 v100, |v12|, |v13|, v100                        // 000000005088: D1D30364 05921B0C
	v_max3_f32 v100, |v14|, |v15|, v100                        // 000000005090: D1D30364 05921F0E
	v_max3_f32 v100, |v16|, |v17|, v100                        // 000000005098: D1D30364 05922310
	v_max3_f32 v100, |v18|, |v19|, v100                        // 0000000050A0: D1D30364 05922712
	v_rcp_f32_e32 v100, v100                                   // 0000000050A8: 7EC84564
	v_mov_b32_e32 v4, 0x43700000                               // 0000000050AC: 7E0802FF 43700000
	v_mul_f32_e32 v100, v4, v100                               // 0000000050B4: 0AC8C904
	v_mov_b32_e32 v4, v100                                     // 0000000050B8: 7E080364
	v_mov_b32_e32 v5, v4                                       // 0000000050BC: 7E0A0304
	v_pk_mul_f32 v[60:61], v[4:5], v[60:61]                    // 0000000050C0: D3B1403C 18027904
	v_pk_mul_f32 v[62:63], v[4:5], v[62:63]                    // 0000000050C8: D3B1403E 18027D04
	v_cvt_pk_fp8_f32 v60, v60, v61                             // 0000000050D0: D2A2003C 00027B3C
	v_cvt_pk_fp8_f32 v60, v62, v63 op_sel:[0,0,1]              // 0000000050D8: D2A2403C 00027F3E
	v_pk_mul_f32 v[80:81], v[4:5], v[80:81]                    // 0000000050E0: D3B14050 1802A104
	v_pk_mul_f32 v[82:83], v[4:5], v[82:83]                    // 0000000050E8: D3B14052 1802A504
	v_cvt_pk_fp8_f32 v80, v80, v81                             // 0000000050F0: D2A20050 0002A350
	v_cvt_pk_fp8_f32 v80, v82, v83 op_sel:[0,0,1]              // 0000000050F8: D2A24050 0002A752
	v_rcp_f32_e32 v100, v100                                   // 000000005100: 7EC84564
	v_mov_b32_e32 v101, 0x358637bd                             // 000000005104: 7ECA02FF 358637BD
	v_max3_f32 v101, |v64|, |v65|, v101                        // 00000000510C: D1D30365 05968340
	v_max3_f32 v101, |v66|, |v67|, v101                        // 000000005114: D1D30365 05968742
	v_max3_f32 v101, |v84|, |v85|, v101                        // 00000000511C: D1D30365 0596AB54
	v_max3_f32 v101, |v86|, |v87|, v101                        // 000000005124: D1D30365 0596AF56
	ds_write_b32 v105, v101                                    // 00000000512C: D81A0000 00006569
	s_waitcnt lgkmcnt(0)                                       // 000000005134: BF8CC07F
	s_barrier                                                  // 000000005138: BF8A0000
	ds_read_b32 v4, v106                                       // 00000000513C: D86C0000 0400006A
	ds_read_b32 v5, v106 offset:64                             // 000000005144: D86C0040 0500006A
	ds_read_b32 v6, v106 offset:128                            // 00000000514C: D86C0080 0600006A
	ds_read_b32 v7, v106 offset:192                            // 000000005154: D86C00C0 0700006A
	ds_read_b32 v8, v106 offset:256                            // 00000000515C: D86C0100 0800006A
	ds_read_b32 v9, v106 offset:320                            // 000000005164: D86C0140 0900006A
	ds_read_b32 v10, v106 offset:384                           // 00000000516C: D86C0180 0A00006A
	ds_read_b32 v11, v106 offset:448                           // 000000005174: D86C01C0 0B00006A
	ds_read_b32 v12, v106 offset:512                           // 00000000517C: D86C0200 0C00006A
	ds_read_b32 v13, v106 offset:576                           // 000000005184: D86C0240 0D00006A
	ds_read_b32 v14, v106 offset:640                           // 00000000518C: D86C0280 0E00006A
	ds_read_b32 v15, v106 offset:704                           // 000000005194: D86C02C0 0F00006A
	ds_read_b32 v16, v106 offset:768                           // 00000000519C: D86C0300 1000006A
	ds_read_b32 v17, v106 offset:832                           // 0000000051A4: D86C0340 1100006A
	ds_read_b32 v18, v106 offset:896                           // 0000000051AC: D86C0380 1200006A
	ds_read_b32 v19, v106 offset:960                           // 0000000051B4: D86C03C0 1300006A
	s_waitcnt lgkmcnt(0)                                       // 0000000051BC: BF8CC07F
	s_barrier                                                  // 0000000051C0: BF8A0000
	v_max3_f32 v101, |v4|, |v5|, v101                          // 0000000051C4: D1D30365 05960B04
	v_max3_f32 v101, |v6|, |v7|, v101                          // 0000000051CC: D1D30365 05960F06
	v_max3_f32 v101, |v8|, |v9|, v101                          // 0000000051D4: D1D30365 05961308
	v_max3_f32 v101, |v10|, |v11|, v101                        // 0000000051DC: D1D30365 0596170A
	v_max3_f32 v101, |v12|, |v13|, v101                        // 0000000051E4: D1D30365 05961B0C
	v_max3_f32 v101, |v14|, |v15|, v101                        // 0000000051EC: D1D30365 05961F0E
	v_max3_f32 v101, |v16|, |v17|, v101                        // 0000000051F4: D1D30365 05962310
	v_max3_f32 v101, |v18|, |v19|, v101                        // 0000000051FC: D1D30365 05962712
	v_rcp_f32_e32 v101, v101                                   // 000000005204: 7ECA4565
	v_mov_b32_e32 v4, 0x43700000                               // 000000005208: 7E0802FF 43700000
	v_mul_f32_e32 v101, v4, v101                               // 000000005210: 0ACACB04
	v_mov_b32_e32 v4, v101                                     // 000000005214: 7E080365
	v_mov_b32_e32 v5, v4                                       // 000000005218: 7E0A0304
	v_pk_mul_f32 v[64:65], v[4:5], v[64:65]                    // 00000000521C: D3B14040 18028104
	v_pk_mul_f32 v[66:67], v[4:5], v[66:67]                    // 000000005224: D3B14042 18028504
	v_cvt_pk_fp8_f32 v64, v64, v65                             // 00000000522C: D2A20040 00028340
	v_cvt_pk_fp8_f32 v64, v66, v67 op_sel:[0,0,1]              // 000000005234: D2A24040 00028742
	v_pk_mul_f32 v[84:85], v[4:5], v[84:85]                    // 00000000523C: D3B14054 1802A904
	v_pk_mul_f32 v[86:87], v[4:5], v[86:87]                    // 000000005244: D3B14056 1802AD04
	v_cvt_pk_fp8_f32 v84, v84, v85                             // 00000000524C: D2A20054 0002AB54
	v_cvt_pk_fp8_f32 v84, v86, v87 op_sel:[0,0,1]              // 000000005254: D2A24054 0002AF56
	v_rcp_f32_e32 v101, v101                                   // 00000000525C: 7ECA4565
	v_mov_b32_e32 v102, 0x358637bd                             // 000000005260: 7ECC02FF 358637BD
	v_max3_f32 v102, |v68|, |v69|, v102                        // 000000005268: D1D30366 059A8B44
	v_max3_f32 v102, |v70|, |v71|, v102                        // 000000005270: D1D30366 059A8F46
	v_max3_f32 v102, |v88|, |v89|, v102                        // 000000005278: D1D30366 059AB358
	v_max3_f32 v102, |v90|, |v91|, v102                        // 000000005280: D1D30366 059AB75A
	ds_write_b32 v105, v102                                    // 000000005288: D81A0000 00006669
	s_waitcnt lgkmcnt(0)                                       // 000000005290: BF8CC07F
	s_barrier                                                  // 000000005294: BF8A0000
	ds_read_b32 v4, v106                                       // 000000005298: D86C0000 0400006A
	ds_read_b32 v5, v106 offset:64                             // 0000000052A0: D86C0040 0500006A
	ds_read_b32 v6, v106 offset:128                            // 0000000052A8: D86C0080 0600006A
	ds_read_b32 v7, v106 offset:192                            // 0000000052B0: D86C00C0 0700006A
	ds_read_b32 v8, v106 offset:256                            // 0000000052B8: D86C0100 0800006A
	ds_read_b32 v9, v106 offset:320                            // 0000000052C0: D86C0140 0900006A
	ds_read_b32 v10, v106 offset:384                           // 0000000052C8: D86C0180 0A00006A
	ds_read_b32 v11, v106 offset:448                           // 0000000052D0: D86C01C0 0B00006A
	ds_read_b32 v12, v106 offset:512                           // 0000000052D8: D86C0200 0C00006A
	ds_read_b32 v13, v106 offset:576                           // 0000000052E0: D86C0240 0D00006A
	ds_read_b32 v14, v106 offset:640                           // 0000000052E8: D86C0280 0E00006A
	ds_read_b32 v15, v106 offset:704                           // 0000000052F0: D86C02C0 0F00006A
	ds_read_b32 v16, v106 offset:768                           // 0000000052F8: D86C0300 1000006A
	ds_read_b32 v17, v106 offset:832                           // 000000005300: D86C0340 1100006A
	ds_read_b32 v18, v106 offset:896                           // 000000005308: D86C0380 1200006A
	ds_read_b32 v19, v106 offset:960                           // 000000005310: D86C03C0 1300006A
	s_waitcnt lgkmcnt(0)                                       // 000000005318: BF8CC07F
	s_barrier                                                  // 00000000531C: BF8A0000
	v_max3_f32 v102, |v4|, |v5|, v102                          // 000000005320: D1D30366 059A0B04
	v_max3_f32 v102, |v6|, |v7|, v102                          // 000000005328: D1D30366 059A0F06
	v_max3_f32 v102, |v8|, |v9|, v102                          // 000000005330: D1D30366 059A1308
	v_max3_f32 v102, |v10|, |v11|, v102                        // 000000005338: D1D30366 059A170A
	v_max3_f32 v102, |v12|, |v13|, v102                        // 000000005340: D1D30366 059A1B0C
	v_max3_f32 v102, |v14|, |v15|, v102                        // 000000005348: D1D30366 059A1F0E
	v_max3_f32 v102, |v16|, |v17|, v102                        // 000000005350: D1D30366 059A2310
	v_max3_f32 v102, |v18|, |v19|, v102                        // 000000005358: D1D30366 059A2712
	v_rcp_f32_e32 v102, v102                                   // 000000005360: 7ECC4566
	v_mov_b32_e32 v4, 0x43700000                               // 000000005364: 7E0802FF 43700000
	v_mul_f32_e32 v102, v4, v102                               // 00000000536C: 0ACCCD04
	v_mov_b32_e32 v4, v102                                     // 000000005370: 7E080366
	v_mov_b32_e32 v5, v4                                       // 000000005374: 7E0A0304
	v_pk_mul_f32 v[68:69], v[4:5], v[68:69]                    // 000000005378: D3B14044 18028904
	v_pk_mul_f32 v[70:71], v[4:5], v[70:71]                    // 000000005380: D3B14046 18028D04
	v_cvt_pk_fp8_f32 v68, v68, v69                             // 000000005388: D2A20044 00028B44
	v_cvt_pk_fp8_f32 v68, v70, v71 op_sel:[0,0,1]              // 000000005390: D2A24044 00028F46
	v_pk_mul_f32 v[88:89], v[4:5], v[88:89]                    // 000000005398: D3B14058 1802B104
	v_pk_mul_f32 v[90:91], v[4:5], v[90:91]                    // 0000000053A0: D3B1405A 1802B504
	v_cvt_pk_fp8_f32 v88, v88, v89                             // 0000000053A8: D2A20058 0002B358
	v_cvt_pk_fp8_f32 v88, v90, v91 op_sel:[0,0,1]              // 0000000053B0: D2A24058 0002B75A
	v_rcp_f32_e32 v102, v102                                   // 0000000053B8: 7ECC4566
	v_mov_b32_e32 v103, 0x358637bd                             // 0000000053BC: 7ECE02FF 358637BD
	v_max3_f32 v103, |v72|, |v73|, v103                        // 0000000053C4: D1D30367 059E9348
	v_max3_f32 v103, |v74|, |v75|, v103                        // 0000000053CC: D1D30367 059E974A
	v_max3_f32 v103, |v92|, |v93|, v103                        // 0000000053D4: D1D30367 059EBB5C
	v_max3_f32 v103, |v94|, |v95|, v103                        // 0000000053DC: D1D30367 059EBF5E
	ds_write_b32 v105, v103                                    // 0000000053E4: D81A0000 00006769
	s_waitcnt lgkmcnt(0)                                       // 0000000053EC: BF8CC07F
	s_barrier                                                  // 0000000053F0: BF8A0000
	ds_read_b32 v4, v106                                       // 0000000053F4: D86C0000 0400006A
	ds_read_b32 v5, v106 offset:64                             // 0000000053FC: D86C0040 0500006A
	ds_read_b32 v6, v106 offset:128                            // 000000005404: D86C0080 0600006A
	ds_read_b32 v7, v106 offset:192                            // 00000000540C: D86C00C0 0700006A
	ds_read_b32 v8, v106 offset:256                            // 000000005414: D86C0100 0800006A
	ds_read_b32 v9, v106 offset:320                            // 00000000541C: D86C0140 0900006A
	ds_read_b32 v10, v106 offset:384                           // 000000005424: D86C0180 0A00006A
	ds_read_b32 v11, v106 offset:448                           // 00000000542C: D86C01C0 0B00006A
	ds_read_b32 v12, v106 offset:512                           // 000000005434: D86C0200 0C00006A
	ds_read_b32 v13, v106 offset:576                           // 00000000543C: D86C0240 0D00006A
	ds_read_b32 v14, v106 offset:640                           // 000000005444: D86C0280 0E00006A
	ds_read_b32 v15, v106 offset:704                           // 00000000544C: D86C02C0 0F00006A
	ds_read_b32 v16, v106 offset:768                           // 000000005454: D86C0300 1000006A
	ds_read_b32 v17, v106 offset:832                           // 00000000545C: D86C0340 1100006A
	ds_read_b32 v18, v106 offset:896                           // 000000005464: D86C0380 1200006A
	ds_read_b32 v19, v106 offset:960                           // 00000000546C: D86C03C0 1300006A
	s_waitcnt lgkmcnt(0)                                       // 000000005474: BF8CC07F
	s_barrier                                                  // 000000005478: BF8A0000
	v_max3_f32 v103, |v4|, |v5|, v103                          // 00000000547C: D1D30367 059E0B04
	v_max3_f32 v103, |v6|, |v7|, v103                          // 000000005484: D1D30367 059E0F06
	v_max3_f32 v103, |v8|, |v9|, v103                          // 00000000548C: D1D30367 059E1308
	v_max3_f32 v103, |v10|, |v11|, v103                        // 000000005494: D1D30367 059E170A
	v_max3_f32 v103, |v12|, |v13|, v103                        // 00000000549C: D1D30367 059E1B0C
	v_max3_f32 v103, |v14|, |v15|, v103                        // 0000000054A4: D1D30367 059E1F0E
	v_max3_f32 v103, |v16|, |v17|, v103                        // 0000000054AC: D1D30367 059E2310
	v_max3_f32 v103, |v18|, |v19|, v103                        // 0000000054B4: D1D30367 059E2712
	v_rcp_f32_e32 v103, v103                                   // 0000000054BC: 7ECE4567
	v_mov_b32_e32 v4, 0x43700000                               // 0000000054C0: 7E0802FF 43700000
	v_mul_f32_e32 v103, v4, v103                               // 0000000054C8: 0ACECF04
	v_mov_b32_e32 v4, v103                                     // 0000000054CC: 7E080367
	v_mov_b32_e32 v5, v4                                       // 0000000054D0: 7E0A0304
	v_pk_mul_f32 v[72:73], v[4:5], v[72:73]                    // 0000000054D4: D3B14048 18029104
	v_pk_mul_f32 v[74:75], v[4:5], v[74:75]                    // 0000000054DC: D3B1404A 18029504
	v_cvt_pk_fp8_f32 v72, v72, v73                             // 0000000054E4: D2A20048 00029348
	v_cvt_pk_fp8_f32 v72, v74, v75 op_sel:[0,0,1]              // 0000000054EC: D2A24048 0002974A
	v_pk_mul_f32 v[92:93], v[4:5], v[92:93]                    // 0000000054F4: D3B1405C 1802B904
	v_pk_mul_f32 v[94:95], v[4:5], v[94:95]                    // 0000000054FC: D3B1405E 1802BD04
	v_cvt_pk_fp8_f32 v92, v92, v93                             // 000000005504: D2A2005C 0002BB5C
	v_cvt_pk_fp8_f32 v92, v94, v95 op_sel:[0,0,1]              // 00000000550C: D2A2405C 0002BF5E
	v_rcp_f32_e32 v103, v103                                   // 000000005514: 7ECE4567
	v_mov_b32_e32 v104, 0x358637bd                             // 000000005518: 7ED002FF 358637BD
	v_max3_f32 v104, |v76|, |v77|, v104                        // 000000005520: D1D30368 05A29B4C
	v_max3_f32 v104, |v78|, |v79|, v104                        // 000000005528: D1D30368 05A29F4E
	v_max3_f32 v104, |v96|, |v97|, v104                        // 000000005530: D1D30368 05A2C360
	v_max3_f32 v104, |v98|, |v99|, v104                        // 000000005538: D1D30368 05A2C762
	ds_write_b32 v105, v104                                    // 000000005540: D81A0000 00006869
	s_waitcnt lgkmcnt(0)                                       // 000000005548: BF8CC07F
	s_barrier                                                  // 00000000554C: BF8A0000
	ds_read_b32 v4, v106                                       // 000000005550: D86C0000 0400006A
	ds_read_b32 v5, v106 offset:64                             // 000000005558: D86C0040 0500006A
	ds_read_b32 v6, v106 offset:128                            // 000000005560: D86C0080 0600006A
	ds_read_b32 v7, v106 offset:192                            // 000000005568: D86C00C0 0700006A
	ds_read_b32 v8, v106 offset:256                            // 000000005570: D86C0100 0800006A
	ds_read_b32 v9, v106 offset:320                            // 000000005578: D86C0140 0900006A
	ds_read_b32 v10, v106 offset:384                           // 000000005580: D86C0180 0A00006A
	ds_read_b32 v11, v106 offset:448                           // 000000005588: D86C01C0 0B00006A
	ds_read_b32 v12, v106 offset:512                           // 000000005590: D86C0200 0C00006A
	ds_read_b32 v13, v106 offset:576                           // 000000005598: D86C0240 0D00006A
	ds_read_b32 v14, v106 offset:640                           // 0000000055A0: D86C0280 0E00006A
	ds_read_b32 v15, v106 offset:704                           // 0000000055A8: D86C02C0 0F00006A
	ds_read_b32 v16, v106 offset:768                           // 0000000055B0: D86C0300 1000006A
	ds_read_b32 v17, v106 offset:832                           // 0000000055B8: D86C0340 1100006A
	ds_read_b32 v18, v106 offset:896                           // 0000000055C0: D86C0380 1200006A
	ds_read_b32 v19, v106 offset:960                           // 0000000055C8: D86C03C0 1300006A
	s_waitcnt lgkmcnt(0)                                       // 0000000055D0: BF8CC07F
	s_barrier                                                  // 0000000055D4: BF8A0000
	v_max3_f32 v104, |v4|, |v5|, v104                          // 0000000055D8: D1D30368 05A20B04
	v_max3_f32 v104, |v6|, |v7|, v104                          // 0000000055E0: D1D30368 05A20F06
	v_max3_f32 v104, |v8|, |v9|, v104                          // 0000000055E8: D1D30368 05A21308
	v_max3_f32 v104, |v10|, |v11|, v104                        // 0000000055F0: D1D30368 05A2170A
	v_max3_f32 v104, |v12|, |v13|, v104                        // 0000000055F8: D1D30368 05A21B0C
	v_max3_f32 v104, |v14|, |v15|, v104                        // 000000005600: D1D30368 05A21F0E
	v_max3_f32 v104, |v16|, |v17|, v104                        // 000000005608: D1D30368 05A22310
	v_max3_f32 v104, |v18|, |v19|, v104                        // 000000005610: D1D30368 05A22712
	v_rcp_f32_e32 v104, v104                                   // 000000005618: 7ED04568
	v_mov_b32_e32 v4, 0x43700000                               // 00000000561C: 7E0802FF 43700000
	v_mul_f32_e32 v104, v4, v104                               // 000000005624: 0AD0D104
	v_mov_b32_e32 v4, v104                                     // 000000005628: 7E080368
	v_mov_b32_e32 v5, v4                                       // 00000000562C: 7E0A0304
	v_pk_mul_f32 v[76:77], v[4:5], v[76:77]                    // 000000005630: D3B1404C 18029904
	v_pk_mul_f32 v[78:79], v[4:5], v[78:79]                    // 000000005638: D3B1404E 18029D04
	v_cvt_pk_fp8_f32 v76, v76, v77                             // 000000005640: D2A2004C 00029B4C
	v_cvt_pk_fp8_f32 v76, v78, v79 op_sel:[0,0,1]              // 000000005648: D2A2404C 00029F4E
	v_pk_mul_f32 v[96:97], v[4:5], v[96:97]                    // 000000005650: D3B14060 1802C104
	v_pk_mul_f32 v[98:99], v[4:5], v[98:99]                    // 000000005658: D3B14062 1802C504
	v_cvt_pk_fp8_f32 v96, v96, v97                             // 000000005660: D2A20060 0002C360
	v_cvt_pk_fp8_f32 v96, v98, v99 op_sel:[0,0,1]              // 000000005668: D2A24060 0002C762
	v_rcp_f32_e32 v104, v104                                   // 000000005670: 7ED04568
	v_lshrrev_b32_e32 v4, 5, v0                                // 000000005674: 20080085
	v_mul_lo_u32 v20, 34, v4                                   // 000000005678: D2850014 000208A2
	v_and_b32_e32 v4, 31, v0                                   // 000000005680: 2608009F
	v_lshrrev_b32_e32 v5, 4, v4                                // 000000005684: 200A0884
	v_add_u32_e32 v20, v5, v20                                 // 000000005688: 68282905
	v_and_b32_e32 v4, 15, v0                                   // 00000000568C: 2608008F
	v_mul_lo_u32 v5, 2, v4                                     // 000000005690: D2850005 00020882
	v_add_u32_e32 v20, v5, v20                                 // 000000005698: 68282905
	s_mul_i32 s60, s7, 0x44                                    // 00000000569C: 923CFF07 00000044
	v_add_u32_e32 v20, s60, v20                                // 0000000056A4: 6828283C
	v_lshlrev_b32_e32 v20, 2, v20                              // 0000000056A8: 24282882
	ds_write_b32 v20, v60                                      // 0000000056AC: D81A0000 00003C14
	ds_write_b32 v20, v64 offset:2176                          // 0000000056B4: D81A0880 00004014
	ds_write_b32 v20, v68 offset:4352                          // 0000000056BC: D81A1100 00004414
	ds_write_b32 v20, v72 offset:6528                          // 0000000056C4: D81A1980 00004814
	ds_write_b32 v20, v76 offset:8704                          // 0000000056CC: D81A2200 00004C14
	ds_write_b32 v20, v80 offset:1088                          // 0000000056D4: D81A0440 00005014
	ds_write_b32 v20, v84 offset:3264                          // 0000000056DC: D81A0CC0 00005414
	ds_write_b32 v20, v88 offset:5440                          // 0000000056E4: D81A1540 00005814
	ds_write_b32 v20, v92 offset:7616                          // 0000000056EC: D81A1DC0 00005C14
	ds_write_b32 v20, v96 offset:9792                          // 0000000056F4: D81A2640 00006014
	v_lshrrev_b32_e32 v4, 5, v0                                // 0000000056FC: 20080085
	v_xor_b32_e32 v5, 1, v4                                    // 000000005700: 2A0A0881
	s_mul_i32 s60, s65, 1                                      // 000000005704: 923C8141
	s_cmp_eq_u32 s88, 0                                        // 000000005708: BF068058
	s_cselect_b32 s61, 1, 8                                    // 00000000570C: 853D8881
	s_mul_i32 s60, s61, s60                                    // 000000005710: 923C3C3D
	v_readlane_b32 s82, v3, 0                                  // 000000005714: D2890052 00010103
	s_lshr_b32 s61, s82, 24                                    // 00000000571C: 8F3D9852
	s_and_b32 s82, s82, 0xffffff                               // 000000005720: 8652FF52 00FFFFFF
	s_mul_i32 s82, s82, s71                                    // 000000005728: 92524752
	s_mul_i32 s61, s60, s61                                    // 00000000572C: 923D3D3C
	s_add_u32 s82, s82, s61                                    // 000000005730: 80523D52
	v_mul_lo_u32 v6, v5, s82                                   // 000000005734: D2850006 0000A505
	v_readlane_b32 s82, v3, 1                                  // 00000000573C: D2890052 00010303
	s_lshr_b32 s61, s82, 24                                    // 000000005744: 8F3D9852
	s_and_b32 s82, s82, 0xffffff                               // 000000005748: 8652FF52 00FFFFFF
	s_mul_i32 s82, s82, s71                                    // 000000005750: 92524752
	s_mul_i32 s61, s60, s61                                    // 000000005754: 923D3D3C
	s_add_u32 s82, s82, s61                                    // 000000005758: 80523D52
	v_mul_lo_u32 v7, v4, s82                                   // 00000000575C: D2850007 0000A504
	v_add_u32_e32 v48, v6, v7                                  // 000000005764: 68600F06
	v_readlane_b32 s82, v3, 2                                  // 000000005768: D2890052 00010503
	s_lshr_b32 s61, s82, 24                                    // 000000005770: 8F3D9852
	s_and_b32 s82, s82, 0xffffff                               // 000000005774: 8652FF52 00FFFFFF
	s_mul_i32 s82, s82, s71                                    // 00000000577C: 92524752
	s_mul_i32 s61, s60, s61                                    // 000000005780: 923D3D3C
	s_add_u32 s82, s82, s61                                    // 000000005784: 80523D52
	v_mul_lo_u32 v6, v5, s82                                   // 000000005788: D2850006 0000A505
	v_readlane_b32 s82, v3, 3                                  // 000000005790: D2890052 00010703
	s_lshr_b32 s61, s82, 24                                    // 000000005798: 8F3D9852
	s_and_b32 s82, s82, 0xffffff                               // 00000000579C: 8652FF52 00FFFFFF
	s_mul_i32 s82, s82, s71                                    // 0000000057A4: 92524752
	s_mul_i32 s61, s60, s61                                    // 0000000057A8: 923D3D3C
	s_add_u32 s82, s82, s61                                    // 0000000057AC: 80523D52
	v_mul_lo_u32 v7, v4, s82                                   // 0000000057B0: D2850007 0000A504
	v_add_u32_e32 v49, v6, v7                                  // 0000000057B8: 68620F06
	v_readlane_b32 s82, v3, 4                                  // 0000000057BC: D2890052 00010903
	s_lshr_b32 s61, s82, 24                                    // 0000000057C4: 8F3D9852
	s_and_b32 s82, s82, 0xffffff                               // 0000000057C8: 8652FF52 00FFFFFF
	s_mul_i32 s82, s82, s71                                    // 0000000057D0: 92524752
	s_mul_i32 s61, s60, s61                                    // 0000000057D4: 923D3D3C
	s_add_u32 s82, s82, s61                                    // 0000000057D8: 80523D52
	v_mul_lo_u32 v6, v5, s82                                   // 0000000057DC: D2850006 0000A505
	v_readlane_b32 s82, v3, 5                                  // 0000000057E4: D2890052 00010B03
	s_lshr_b32 s61, s82, 24                                    // 0000000057EC: 8F3D9852
	s_and_b32 s82, s82, 0xffffff                               // 0000000057F0: 8652FF52 00FFFFFF
	s_mul_i32 s82, s82, s71                                    // 0000000057F8: 92524752
	s_mul_i32 s61, s60, s61                                    // 0000000057FC: 923D3D3C
	s_add_u32 s82, s82, s61                                    // 000000005800: 80523D52
	v_mul_lo_u32 v7, v4, s82                                   // 000000005804: D2850007 0000A504
	v_add_u32_e32 v50, v6, v7                                  // 00000000580C: 68640F06
	v_readlane_b32 s82, v3, 6                                  // 000000005810: D2890052 00010D03
	s_lshr_b32 s61, s82, 24                                    // 000000005818: 8F3D9852
	s_and_b32 s82, s82, 0xffffff                               // 00000000581C: 8652FF52 00FFFFFF
	s_mul_i32 s82, s82, s71                                    // 000000005824: 92524752
	s_mul_i32 s61, s60, s61                                    // 000000005828: 923D3D3C
	s_add_u32 s82, s82, s61                                    // 00000000582C: 80523D52
	v_mul_lo_u32 v6, v5, s82                                   // 000000005830: D2850006 0000A505
	v_readlane_b32 s82, v3, 7                                  // 000000005838: D2890052 00010F03
	s_lshr_b32 s61, s82, 24                                    // 000000005840: 8F3D9852
	s_and_b32 s82, s82, 0xffffff                               // 000000005844: 8652FF52 00FFFFFF
	s_mul_i32 s82, s82, s71                                    // 00000000584C: 92524752
	s_mul_i32 s61, s60, s61                                    // 000000005850: 923D3D3C
	s_add_u32 s82, s82, s61                                    // 000000005854: 80523D52
	v_mul_lo_u32 v7, v4, s82                                   // 000000005858: D2850007 0000A504
	v_add_u32_e32 v51, v6, v7                                  // 000000005860: 68660F06
	v_readlane_b32 s82, v3, 8                                  // 000000005864: D2890052 00011103
	s_lshr_b32 s61, s82, 24                                    // 00000000586C: 8F3D9852
	s_and_b32 s82, s82, 0xffffff                               // 000000005870: 8652FF52 00FFFFFF
	s_mul_i32 s82, s82, s71                                    // 000000005878: 92524752
	s_mul_i32 s61, s60, s61                                    // 00000000587C: 923D3D3C
	s_add_u32 s82, s82, s61                                    // 000000005880: 80523D52
	v_mul_lo_u32 v6, v5, s82                                   // 000000005884: D2850006 0000A505
	v_readlane_b32 s82, v3, 9                                  // 00000000588C: D2890052 00011303
	s_lshr_b32 s61, s82, 24                                    // 000000005894: 8F3D9852
	s_and_b32 s82, s82, 0xffffff                               // 000000005898: 8652FF52 00FFFFFF
	s_mul_i32 s82, s82, s71                                    // 0000000058A0: 92524752
	s_mul_i32 s61, s60, s61                                    // 0000000058A4: 923D3D3C
	s_add_u32 s82, s82, s61                                    // 0000000058A8: 80523D52
	v_mul_lo_u32 v7, v4, s82                                   // 0000000058AC: D2850007 0000A504
	v_add_u32_e32 v52, v6, v7                                  // 0000000058B4: 68680F06
	v_readlane_b32 s82, v3, 10                                 // 0000000058B8: D2890052 00011503
	s_lshr_b32 s61, s82, 24                                    // 0000000058C0: 8F3D9852
	s_and_b32 s82, s82, 0xffffff                               // 0000000058C4: 8652FF52 00FFFFFF
	s_mul_i32 s82, s82, s71                                    // 0000000058CC: 92524752
	s_mul_i32 s61, s60, s61                                    // 0000000058D0: 923D3D3C
	s_add_u32 s82, s82, s61                                    // 0000000058D4: 80523D52
	v_mul_lo_u32 v6, v5, s82                                   // 0000000058D8: D2850006 0000A505
	v_readlane_b32 s82, v3, 11                                 // 0000000058E0: D2890052 00011703
	s_lshr_b32 s61, s82, 24                                    // 0000000058E8: 8F3D9852
	s_and_b32 s82, s82, 0xffffff                               // 0000000058EC: 8652FF52 00FFFFFF
	s_mul_i32 s82, s82, s71                                    // 0000000058F4: 92524752
	s_mul_i32 s61, s60, s61                                    // 0000000058F8: 923D3D3C
	s_add_u32 s82, s82, s61                                    // 0000000058FC: 80523D52
	v_mul_lo_u32 v7, v4, s82                                   // 000000005900: D2850007 0000A504
	v_add_u32_e32 v53, v6, v7                                  // 000000005908: 686A0F06
	v_readlane_b32 s82, v3, 12                                 // 00000000590C: D2890052 00011903
	s_lshr_b32 s61, s82, 24                                    // 000000005914: 8F3D9852
	s_and_b32 s82, s82, 0xffffff                               // 000000005918: 8652FF52 00FFFFFF
	s_mul_i32 s82, s82, s71                                    // 000000005920: 92524752
	s_mul_i32 s61, s60, s61                                    // 000000005924: 923D3D3C
	s_add_u32 s82, s82, s61                                    // 000000005928: 80523D52
	v_mul_lo_u32 v6, v5, s82                                   // 00000000592C: D2850006 0000A505
	v_readlane_b32 s82, v3, 13                                 // 000000005934: D2890052 00011B03
	s_lshr_b32 s61, s82, 24                                    // 00000000593C: 8F3D9852
	s_and_b32 s82, s82, 0xffffff                               // 000000005940: 8652FF52 00FFFFFF
	s_mul_i32 s82, s82, s71                                    // 000000005948: 92524752
	s_mul_i32 s61, s60, s61                                    // 00000000594C: 923D3D3C
	s_add_u32 s82, s82, s61                                    // 000000005950: 80523D52
	v_mul_lo_u32 v7, v4, s82                                   // 000000005954: D2850007 0000A504
	v_add_u32_e32 v54, v6, v7                                  // 00000000595C: 686C0F06
	v_readlane_b32 s82, v3, 14                                 // 000000005960: D2890052 00011D03
	s_lshr_b32 s61, s82, 24                                    // 000000005968: 8F3D9852
	s_and_b32 s82, s82, 0xffffff                               // 00000000596C: 8652FF52 00FFFFFF
	s_mul_i32 s82, s82, s71                                    // 000000005974: 92524752
	s_mul_i32 s61, s60, s61                                    // 000000005978: 923D3D3C
	s_add_u32 s82, s82, s61                                    // 00000000597C: 80523D52
	v_mul_lo_u32 v6, v5, s82                                   // 000000005980: D2850006 0000A505
	v_readlane_b32 s82, v3, 15                                 // 000000005988: D2890052 00011F03
	s_lshr_b32 s61, s82, 24                                    // 000000005990: 8F3D9852
	s_and_b32 s82, s82, 0xffffff                               // 000000005994: 8652FF52 00FFFFFF
	s_mul_i32 s82, s82, s71                                    // 00000000599C: 92524752
	s_mul_i32 s61, s60, s61                                    // 0000000059A0: 923D3D3C
	s_add_u32 s82, s82, s61                                    // 0000000059A4: 80523D52
	v_mul_lo_u32 v7, v4, s82                                   // 0000000059A8: D2850007 0000A504
	v_add_u32_e32 v55, v6, v7                                  // 0000000059B0: 686E0F06
	v_readlane_b32 s82, v3, 16                                 // 0000000059B4: D2890052 00012103
	s_lshr_b32 s61, s82, 24                                    // 0000000059BC: 8F3D9852
	s_and_b32 s82, s82, 0xffffff                               // 0000000059C0: 8652FF52 00FFFFFF
	s_mul_i32 s82, s82, s71                                    // 0000000059C8: 92524752
	s_mul_i32 s61, s60, s61                                    // 0000000059CC: 923D3D3C
	s_add_u32 s82, s82, s61                                    // 0000000059D0: 80523D52
	v_mul_lo_u32 v6, v5, s82                                   // 0000000059D4: D2850006 0000A505
	v_readlane_b32 s82, v3, 17                                 // 0000000059DC: D2890052 00012303
	s_lshr_b32 s61, s82, 24                                    // 0000000059E4: 8F3D9852
	s_and_b32 s82, s82, 0xffffff                               // 0000000059E8: 8652FF52 00FFFFFF
	s_mul_i32 s82, s82, s71                                    // 0000000059F0: 92524752
	s_mul_i32 s61, s60, s61                                    // 0000000059F4: 923D3D3C
	s_add_u32 s82, s82, s61                                    // 0000000059F8: 80523D52
	v_mul_lo_u32 v7, v4, s82                                   // 0000000059FC: D2850007 0000A504
	v_add_u32_e32 v56, v6, v7                                  // 000000005A04: 68700F06
	v_readlane_b32 s82, v3, 18                                 // 000000005A08: D2890052 00012503
	s_lshr_b32 s61, s82, 24                                    // 000000005A10: 8F3D9852
	s_and_b32 s82, s82, 0xffffff                               // 000000005A14: 8652FF52 00FFFFFF
	s_mul_i32 s82, s82, s71                                    // 000000005A1C: 92524752
	s_mul_i32 s61, s60, s61                                    // 000000005A20: 923D3D3C
	s_add_u32 s82, s82, s61                                    // 000000005A24: 80523D52
	v_mul_lo_u32 v6, v5, s82                                   // 000000005A28: D2850006 0000A505
	v_readlane_b32 s82, v3, 19                                 // 000000005A30: D2890052 00012703
	s_lshr_b32 s61, s82, 24                                    // 000000005A38: 8F3D9852
	s_and_b32 s82, s82, 0xffffff                               // 000000005A3C: 8652FF52 00FFFFFF
	s_mul_i32 s82, s82, s71                                    // 000000005A44: 92524752
	s_mul_i32 s61, s60, s61                                    // 000000005A48: 923D3D3C
	s_add_u32 s82, s82, s61                                    // 000000005A4C: 80523D52
	v_mul_lo_u32 v7, v4, s82                                   // 000000005A50: D2850007 0000A504
	v_add_u32_e32 v57, v6, v7                                  // 000000005A58: 68720F06
	v_and_b32_e32 v4, 31, v0                                   // 000000005A5C: 2608009F
	v_lshrrev_b32_e32 v4, 1, v4                                // 000000005A60: 20080881
	s_cmp_eq_u32 s88, 0                                        // 000000005A64: BF068058
	s_cselect_b32 s61, 2, 4                                    // 000000005A68: 853D8482
	v_mul_lo_u32 v4, v4, s61                                   // 000000005A6C: D2850004 00007B04
	v_and_b32_e64 v5, v0, 1                                    // 000000005A74: D1130005 00010300
	v_add_u32_e32 v4, v4, v5                                   // 000000005A7C: 68080B04
	v_lshlrev_b32_e32 v4, 2, v4                                // 000000005A80: 24080882
	v_add_u32_e32 v48, v48, v4                                 // 000000005A84: 68600930
	v_add_u32_e32 v49, v49, v4                                 // 000000005A88: 68620931
	v_add_u32_e32 v50, v50, v4                                 // 000000005A8C: 68640932
	v_add_u32_e32 v51, v51, v4                                 // 000000005A90: 68660933
	v_add_u32_e32 v52, v52, v4                                 // 000000005A94: 68680934
	v_add_u32_e32 v53, v53, v4                                 // 000000005A98: 686A0935
	v_add_u32_e32 v54, v54, v4                                 // 000000005A9C: 686C0936
	v_add_u32_e32 v55, v55, v4                                 // 000000005AA0: 686E0937
	v_add_u32_e32 v56, v56, v4                                 // 000000005AA4: 68700938
	v_add_u32_e32 v57, v57, v4                                 // 000000005AA8: 68720939
	s_waitcnt lgkmcnt(0)                                       // 000000005AAC: BF8CC07F
	s_barrier                                                  // 000000005AB0: BF8A0000
	ds_read_b32 v60, v21                                       // 000000005AB4: D86C0000 3C000015
	ds_read_b32 v61, v21 offset:64                             // 000000005ABC: D86C0040 3D000015
	ds_read_b32 v62, v21 offset:2176                           // 000000005AC4: D86C0880 3E000015
	ds_read_b32 v63, v21 offset:2240                           // 000000005ACC: D86C08C0 3F000015
	ds_read_b32 v64, v21 offset:4352                           // 000000005AD4: D86C1100 40000015
	ds_read_b32 v65, v21 offset:4416                           // 000000005ADC: D86C1140 41000015
	ds_read_b32 v66, v21 offset:6528                           // 000000005AE4: D86C1980 42000015
	ds_read_b32 v67, v21 offset:6592                           // 000000005AEC: D86C19C0 43000015
	ds_read_b32 v68, v21 offset:8704                           // 000000005AF4: D86C2200 44000015
	ds_read_b32 v69, v21 offset:8768                           // 000000005AFC: D86C2240 45000015
	s_waitcnt lgkmcnt(0)                                       // 000000005B04: BF8CC07F
	s_mov_b32 s36, -1                                          // 000000005B08: BEA400C1
	s_mov_b32 s37, -1                                          // 000000005B0C: BEA500C1
	v_mov_b32_e32 v7, 0                                        // 000000005B10: 7E0E0280
	s_or_b32 s9, s9, 0x40000                                   // 000000005B14: 8709FF09 00040000
	s_mov_b64 exec, s[36:37]                                   // 000000005B1C: BEFE0124
	v_mov_b32_e32 v6, v48                                      // 000000005B20: 7E0C0330
	s_mov_b64 s[60:61], 0                                      // 000000005B24: BEBC0180
	v_readlane_b32 s82, v3, 0                                  // 000000005B28: D2890052 00010103
	s_and_b32 s82, s82, 0xffffff                               // 000000005B30: 8652FF52 00FFFFFF
	s_cmp_lt_u32 s82, s66                                      // 000000005B38: BF0A4252
	s_cselect_b32 s20, s36, s60                                // 000000005B3C: 85143C24
	v_readlane_b32 s82, v3, 1                                  // 000000005B40: D2890052 00010303
	s_and_b32 s82, s82, 0xffffff                               // 000000005B48: 8652FF52 00FFFFFF
	s_cmp_lt_u32 s82, s66                                      // 000000005B50: BF0A4252
	s_cselect_b32 s21, s36, s60                                // 000000005B54: 85153C24
	s_mov_b64 exec, s[20:21]                                   // 000000005B58: BEFE0114
	buffer_store_dword v60, v6, s[8:11], 0 offen               // 000000005B5C: E0701000 80023C06
	s_mov_b64 exec, s[36:37]                                   // 000000005B64: BEFE0124
	v_mov_b32_e32 v6, v49                                      // 000000005B68: 7E0C0331
	s_mov_b64 s[60:61], 0                                      // 000000005B6C: BEBC0180
	v_readlane_b32 s82, v3, 2                                  // 000000005B70: D2890052 00010503
	s_and_b32 s82, s82, 0xffffff                               // 000000005B78: 8652FF52 00FFFFFF
	s_cmp_lt_u32 s82, s66                                      // 000000005B80: BF0A4252
	s_cselect_b32 s20, s36, s60                                // 000000005B84: 85143C24
	v_readlane_b32 s82, v3, 3                                  // 000000005B88: D2890052 00010703
	s_and_b32 s82, s82, 0xffffff                               // 000000005B90: 8652FF52 00FFFFFF
	s_cmp_lt_u32 s82, s66                                      // 000000005B98: BF0A4252
	s_cselect_b32 s21, s36, s60                                // 000000005B9C: 85153C24
	s_mov_b64 exec, s[20:21]                                   // 000000005BA0: BEFE0114
	buffer_store_dword v61, v6, s[8:11], 0 offen               // 000000005BA4: E0701000 80023D06
	s_mov_b64 exec, s[36:37]                                   // 000000005BAC: BEFE0124
	v_mov_b32_e32 v6, v50                                      // 000000005BB0: 7E0C0332
	s_mov_b64 s[60:61], 0                                      // 000000005BB4: BEBC0180
	v_readlane_b32 s82, v3, 4                                  // 000000005BB8: D2890052 00010903
	s_and_b32 s82, s82, 0xffffff                               // 000000005BC0: 8652FF52 00FFFFFF
	s_cmp_lt_u32 s82, s66                                      // 000000005BC8: BF0A4252
	s_cselect_b32 s20, s36, s60                                // 000000005BCC: 85143C24
	v_readlane_b32 s82, v3, 5                                  // 000000005BD0: D2890052 00010B03
	s_and_b32 s82, s82, 0xffffff                               // 000000005BD8: 8652FF52 00FFFFFF
	s_cmp_lt_u32 s82, s66                                      // 000000005BE0: BF0A4252
	s_cselect_b32 s21, s36, s60                                // 000000005BE4: 85153C24
	s_mov_b64 exec, s[20:21]                                   // 000000005BE8: BEFE0114
	buffer_store_dword v62, v6, s[8:11], 0 offen               // 000000005BEC: E0701000 80023E06
	s_mov_b64 exec, s[36:37]                                   // 000000005BF4: BEFE0124
	v_mov_b32_e32 v6, v51                                      // 000000005BF8: 7E0C0333
	s_mov_b64 s[60:61], 0                                      // 000000005BFC: BEBC0180
	v_readlane_b32 s82, v3, 6                                  // 000000005C00: D2890052 00010D03
	s_and_b32 s82, s82, 0xffffff                               // 000000005C08: 8652FF52 00FFFFFF
	s_cmp_lt_u32 s82, s66                                      // 000000005C10: BF0A4252
	s_cselect_b32 s20, s36, s60                                // 000000005C14: 85143C24
	v_readlane_b32 s82, v3, 7                                  // 000000005C18: D2890052 00010F03
	s_and_b32 s82, s82, 0xffffff                               // 000000005C20: 8652FF52 00FFFFFF
	s_cmp_lt_u32 s82, s66                                      // 000000005C28: BF0A4252
	s_cselect_b32 s21, s36, s60                                // 000000005C2C: 85153C24
	s_mov_b64 exec, s[20:21]                                   // 000000005C30: BEFE0114
	buffer_store_dword v63, v6, s[8:11], 0 offen               // 000000005C34: E0701000 80023F06
	s_mov_b64 exec, s[36:37]                                   // 000000005C3C: BEFE0124
	v_mov_b32_e32 v6, v52                                      // 000000005C40: 7E0C0334
	s_mov_b64 s[60:61], 0                                      // 000000005C44: BEBC0180
	v_readlane_b32 s82, v3, 8                                  // 000000005C48: D2890052 00011103
	s_and_b32 s82, s82, 0xffffff                               // 000000005C50: 8652FF52 00FFFFFF
	s_cmp_lt_u32 s82, s66                                      // 000000005C58: BF0A4252
	s_cselect_b32 s20, s36, s60                                // 000000005C5C: 85143C24
	v_readlane_b32 s82, v3, 9                                  // 000000005C60: D2890052 00011303
	s_and_b32 s82, s82, 0xffffff                               // 000000005C68: 8652FF52 00FFFFFF
	s_cmp_lt_u32 s82, s66                                      // 000000005C70: BF0A4252
	s_cselect_b32 s21, s36, s60                                // 000000005C74: 85153C24
	s_mov_b64 exec, s[20:21]                                   // 000000005C78: BEFE0114
	buffer_store_dword v64, v6, s[8:11], 0 offen               // 000000005C7C: E0701000 80024006
	s_mov_b64 exec, s[36:37]                                   // 000000005C84: BEFE0124
	v_mov_b32_e32 v6, v53                                      // 000000005C88: 7E0C0335
	s_mov_b64 s[60:61], 0                                      // 000000005C8C: BEBC0180
	v_readlane_b32 s82, v3, 10                                 // 000000005C90: D2890052 00011503
	s_and_b32 s82, s82, 0xffffff                               // 000000005C98: 8652FF52 00FFFFFF
	s_cmp_lt_u32 s82, s66                                      // 000000005CA0: BF0A4252
	s_cselect_b32 s20, s36, s60                                // 000000005CA4: 85143C24
	v_readlane_b32 s82, v3, 11                                 // 000000005CA8: D2890052 00011703
	s_and_b32 s82, s82, 0xffffff                               // 000000005CB0: 8652FF52 00FFFFFF
	s_cmp_lt_u32 s82, s66                                      // 000000005CB8: BF0A4252
	s_cselect_b32 s21, s36, s60                                // 000000005CBC: 85153C24
	s_mov_b64 exec, s[20:21]                                   // 000000005CC0: BEFE0114
	buffer_store_dword v65, v6, s[8:11], 0 offen               // 000000005CC4: E0701000 80024106
	s_mov_b64 exec, s[36:37]                                   // 000000005CCC: BEFE0124
	v_mov_b32_e32 v6, v54                                      // 000000005CD0: 7E0C0336
	s_mov_b64 s[60:61], 0                                      // 000000005CD4: BEBC0180
	v_readlane_b32 s82, v3, 12                                 // 000000005CD8: D2890052 00011903
	s_and_b32 s82, s82, 0xffffff                               // 000000005CE0: 8652FF52 00FFFFFF
	s_cmp_lt_u32 s82, s66                                      // 000000005CE8: BF0A4252
	s_cselect_b32 s20, s36, s60                                // 000000005CEC: 85143C24
	v_readlane_b32 s82, v3, 13                                 // 000000005CF0: D2890052 00011B03
	s_and_b32 s82, s82, 0xffffff                               // 000000005CF8: 8652FF52 00FFFFFF
	s_cmp_lt_u32 s82, s66                                      // 000000005D00: BF0A4252
	s_cselect_b32 s21, s36, s60                                // 000000005D04: 85153C24
	s_mov_b64 exec, s[20:21]                                   // 000000005D08: BEFE0114
	buffer_store_dword v66, v6, s[8:11], 0 offen               // 000000005D0C: E0701000 80024206
	s_mov_b64 exec, s[36:37]                                   // 000000005D14: BEFE0124
	v_mov_b32_e32 v6, v55                                      // 000000005D18: 7E0C0337
	s_mov_b64 s[60:61], 0                                      // 000000005D1C: BEBC0180
	v_readlane_b32 s82, v3, 14                                 // 000000005D20: D2890052 00011D03
	s_and_b32 s82, s82, 0xffffff                               // 000000005D28: 8652FF52 00FFFFFF
	s_cmp_lt_u32 s82, s66                                      // 000000005D30: BF0A4252
	s_cselect_b32 s20, s36, s60                                // 000000005D34: 85143C24
	v_readlane_b32 s82, v3, 15                                 // 000000005D38: D2890052 00011F03
	s_and_b32 s82, s82, 0xffffff                               // 000000005D40: 8652FF52 00FFFFFF
	s_cmp_lt_u32 s82, s66                                      // 000000005D48: BF0A4252
	s_cselect_b32 s21, s36, s60                                // 000000005D4C: 85153C24
	s_mov_b64 exec, s[20:21]                                   // 000000005D50: BEFE0114
	buffer_store_dword v67, v6, s[8:11], 0 offen               // 000000005D54: E0701000 80024306
	s_mov_b64 exec, s[36:37]                                   // 000000005D5C: BEFE0124
	v_mov_b32_e32 v6, v56                                      // 000000005D60: 7E0C0338
	s_mov_b64 s[60:61], 0                                      // 000000005D64: BEBC0180
	v_readlane_b32 s82, v3, 16                                 // 000000005D68: D2890052 00012103
	s_and_b32 s82, s82, 0xffffff                               // 000000005D70: 8652FF52 00FFFFFF
	s_cmp_lt_u32 s82, s66                                      // 000000005D78: BF0A4252
	s_cselect_b32 s20, s36, s60                                // 000000005D7C: 85143C24
	v_readlane_b32 s82, v3, 17                                 // 000000005D80: D2890052 00012303
	s_and_b32 s82, s82, 0xffffff                               // 000000005D88: 8652FF52 00FFFFFF
	s_cmp_lt_u32 s82, s66                                      // 000000005D90: BF0A4252
	s_cselect_b32 s21, s36, s60                                // 000000005D94: 85153C24
	s_mov_b64 exec, s[20:21]                                   // 000000005D98: BEFE0114
	buffer_store_dword v68, v6, s[8:11], 0 offen               // 000000005D9C: E0701000 80024406
	s_mov_b64 exec, s[36:37]                                   // 000000005DA4: BEFE0124
	v_mov_b32_e32 v6, v57                                      // 000000005DA8: 7E0C0339
	s_mov_b64 s[60:61], 0                                      // 000000005DAC: BEBC0180
	v_readlane_b32 s82, v3, 18                                 // 000000005DB0: D2890052 00012503
	s_and_b32 s82, s82, 0xffffff                               // 000000005DB8: 8652FF52 00FFFFFF
	s_cmp_lt_u32 s82, s66                                      // 000000005DC0: BF0A4252
	s_cselect_b32 s20, s36, s60                                // 000000005DC4: 85143C24
	v_readlane_b32 s82, v3, 19                                 // 000000005DC8: D2890052 00012703
	s_and_b32 s82, s82, 0xffffff                               // 000000005DD0: 8652FF52 00FFFFFF
	s_cmp_lt_u32 s82, s66                                      // 000000005DD8: BF0A4252
	s_cselect_b32 s21, s36, s60                                // 000000005DDC: 85153C24
	s_mov_b64 exec, s[20:21]                                   // 000000005DE0: BEFE0114
	buffer_store_dword v69, v6, s[8:11], 0 offen               // 000000005DE4: E0701000 80024506
	s_mov_b64 exec, s[36:37]                                   // 000000005DEC: BEFE0124
	s_cmp_eq_u32 s7, 0                                         // 000000005DF0: BF068007
	s_cbranch_scc0 label_21F8                                  // 000000005DF4: BF8414F7
	s_waitcnt vmcnt(10)                                        // 000000005DF8: BF8C0F7A
	s_mov_b32 s8, s90                                          // 000000005DFC: BE88005A
	s_mov_b32 s9, s91                                          // 000000005E00: BE89005B
	s_mul_i32 s60, s66, s71                                    // 000000005E04: 923C4742
	s_add_u32 s8, s60, s8                                      // 000000005E08: 8008083C
	s_addc_u32 s9, 0, s9                                       // 000000005E0C: 82090980
	s_lshr_b32 s71, s71, 5                                     // 000000005E10: 8F478547
	s_mul_i32 s60, s66, s71                                    // 000000005E14: 923C4742
	s_mov_b32 s10, s60                                         // 000000005E18: BE8A003C
	s_lshr_b32 s61, s65, 5                                     // 000000005E1C: 8F3D8541
	s_mul_i32 s60, s2, 4                                       // 000000005E20: 923C8402
	v_lshrrev_b32_e32 v4, 24, v28                              // 000000005E24: 20083898
	v_mul_lo_u32 v4, s61, v4                                   // 000000005E28: D2850004 0002083D
	v_and_b32_e32 v28, 0xffffff, v28                           // 000000005E30: 263838FF 00FFFFFF
	v_mul_lo_u32 v28, s71, v28                                 // 000000005E38: D285001C 00023847
	v_add_u32_e32 v28, v4, v28                                 // 000000005E40: 68383904
	v_add_u32_e32 v28, s60, v28                                // 000000005E44: 6838383C
	v_lshrrev_b32_e32 v4, 24, v29                              // 000000005E48: 20083A98
	v_mul_lo_u32 v4, s61, v4                                   // 000000005E4C: D2850004 0002083D
	v_and_b32_e32 v29, 0xffffff, v29                           // 000000005E54: 263A3AFF 00FFFFFF
	v_mul_lo_u32 v29, s71, v29                                 // 000000005E5C: D285001D 00023A47
	v_add_u32_e32 v29, v4, v29                                 // 000000005E64: 683A3B04
	v_add_u32_e32 v29, s60, v29                                // 000000005E68: 683A3A3C
	v_lshrrev_b32_e32 v4, 24, v30                              // 000000005E6C: 20083C98
	v_mul_lo_u32 v4, s61, v4                                   // 000000005E70: D2850004 0002083D
	v_and_b32_e32 v30, 0xffffff, v30                           // 000000005E78: 263C3CFF 00FFFFFF
	v_mul_lo_u32 v30, s71, v30                                 // 000000005E80: D285001E 00023C47
	v_add_u32_e32 v30, v4, v30                                 // 000000005E88: 683C3D04
	v_add_u32_e32 v30, s60, v30                                // 000000005E8C: 683C3C3C
	v_lshrrev_b32_e32 v4, 24, v31                              // 000000005E90: 20083E98
	v_mul_lo_u32 v4, s61, v4                                   // 000000005E94: D2850004 0002083D
	v_and_b32_e32 v31, 0xffffff, v31                           // 000000005E9C: 263E3EFF 00FFFFFF
	v_mul_lo_u32 v31, s71, v31                                 // 000000005EA4: D285001F 00023E47
	v_add_u32_e32 v31, v4, v31                                 // 000000005EAC: 683E3F04
	v_add_u32_e32 v31, s60, v31                                // 000000005EB0: 683E3E3C
	v_lshrrev_b32_e32 v4, 24, v32                              // 000000005EB4: 20084098
	v_mul_lo_u32 v4, s61, v4                                   // 000000005EB8: D2850004 0002083D
	v_and_b32_e32 v32, 0xffffff, v32                           // 000000005EC0: 264040FF 00FFFFFF
	v_mul_lo_u32 v32, s71, v32                                 // 000000005EC8: D2850020 00024047
	v_add_u32_e32 v32, v4, v32                                 // 000000005ED0: 68404104
	v_add_u32_e32 v32, s60, v32                                // 000000005ED4: 6840403C
	s_mov_b64 exec, 0xffff                                     // 000000005ED8: BEFE01FF 0000FFFF
	buffer_store_dword v100, v28, s[8:11], 0 offen             // 000000005EE0: E0701000 8002641C
	buffer_store_dword v101, v29, s[8:11], 0 offen             // 000000005EE8: E0701000 8002651D
	buffer_store_dword v102, v30, s[8:11], 0 offen             // 000000005EF0: E0701000 8002661E
	buffer_store_dword v103, v31, s[8:11], 0 offen             // 000000005EF8: E0701000 8002671F
	buffer_store_dword v104, v32, s[8:11], 0 offen             // 000000005F00: E0701000 80026820
	s_mov_b64 exec, s[36:37]                                   // 000000005F08: BEFE0124
	s_branch label_21F8                                        // 000000005F0C: BF8214B1

0000000000005f10 <label_0D44>:
	ds_write_b64 v20, v[60:61]                                 // 000000005F10: D89A0000 00003C14
	ds_write_b64 v20, v[64:65] offset:4352                     // 000000005F18: D89A1100 00004014
	ds_write_b64 v20, v[68:69] offset:8704                     // 000000005F20: D89A2200 00004414
	ds_write_b64 v20, v[72:73] offset:13056                    // 000000005F28: D89A3300 00004814
	ds_write_b64 v20, v[76:77] offset:17408                    // 000000005F30: D89A4400 00004C14
	ds_write_b64 v20, v[80:81] offset:2176                     // 000000005F38: D89A0880 00005014
	ds_write_b64 v20, v[84:85] offset:6528                     // 000000005F40: D89A1980 00005414
	ds_write_b64 v20, v[88:89] offset:10880                    // 000000005F48: D89A2A80 00005814
	ds_write_b64 v20, v[92:93] offset:15232                    // 000000005F50: D89A3B80 00005C14
	ds_write_b64 v20, v[96:97] offset:19584                    // 000000005F58: D89A4C80 00006014
	v_lshrrev_b32_e32 v4, 5, v0                                // 000000005F60: 20080085
	v_xor_b32_e32 v5, 1, v4                                    // 000000005F64: 2A0A0881
	s_mul_i32 s60, s65, 1                                      // 000000005F68: 923C8141
	s_cmp_eq_u32 s88, 0                                        // 000000005F6C: BF068058
	s_cselect_b32 s61, 1, 8                                    // 000000005F70: 853D8881
	s_mul_i32 s60, s61, s60                                    // 000000005F74: 923C3C3D
	v_readlane_b32 s82, v3, 0                                  // 000000005F78: D2890052 00010103
	s_lshr_b32 s61, s82, 24                                    // 000000005F80: 8F3D9852
	s_and_b32 s82, s82, 0xffffff                               // 000000005F84: 8652FF52 00FFFFFF
	s_mul_i32 s82, s82, s71                                    // 000000005F8C: 92524752
	s_mul_i32 s61, s60, s61                                    // 000000005F90: 923D3D3C
	s_add_u32 s82, s82, s61                                    // 000000005F94: 80523D52
	v_mul_lo_u32 v6, v5, s82                                   // 000000005F98: D2850006 0000A505
	v_readlane_b32 s82, v3, 1                                  // 000000005FA0: D2890052 00010303
	s_lshr_b32 s61, s82, 24                                    // 000000005FA8: 8F3D9852
	s_and_b32 s82, s82, 0xffffff                               // 000000005FAC: 8652FF52 00FFFFFF
	s_mul_i32 s82, s82, s71                                    // 000000005FB4: 92524752
	s_mul_i32 s61, s60, s61                                    // 000000005FB8: 923D3D3C
	s_add_u32 s82, s82, s61                                    // 000000005FBC: 80523D52
	v_mul_lo_u32 v7, v4, s82                                   // 000000005FC0: D2850007 0000A504
	v_add_u32_e32 v48, v6, v7                                  // 000000005FC8: 68600F06
	v_readlane_b32 s82, v3, 2                                  // 000000005FCC: D2890052 00010503
	s_lshr_b32 s61, s82, 24                                    // 000000005FD4: 8F3D9852
	s_and_b32 s82, s82, 0xffffff                               // 000000005FD8: 8652FF52 00FFFFFF
	s_mul_i32 s82, s82, s71                                    // 000000005FE0: 92524752
	s_mul_i32 s61, s60, s61                                    // 000000005FE4: 923D3D3C
	s_add_u32 s82, s82, s61                                    // 000000005FE8: 80523D52
	v_mul_lo_u32 v6, v5, s82                                   // 000000005FEC: D2850006 0000A505
	v_readlane_b32 s82, v3, 3                                  // 000000005FF4: D2890052 00010703
	s_lshr_b32 s61, s82, 24                                    // 000000005FFC: 8F3D9852
	s_and_b32 s82, s82, 0xffffff                               // 000000006000: 8652FF52 00FFFFFF
	s_mul_i32 s82, s82, s71                                    // 000000006008: 92524752
	s_mul_i32 s61, s60, s61                                    // 00000000600C: 923D3D3C
	s_add_u32 s82, s82, s61                                    // 000000006010: 80523D52
	v_mul_lo_u32 v7, v4, s82                                   // 000000006014: D2850007 0000A504
	v_add_u32_e32 v49, v6, v7                                  // 00000000601C: 68620F06
	v_readlane_b32 s82, v3, 4                                  // 000000006020: D2890052 00010903
	s_lshr_b32 s61, s82, 24                                    // 000000006028: 8F3D9852
	s_and_b32 s82, s82, 0xffffff                               // 00000000602C: 8652FF52 00FFFFFF
	s_mul_i32 s82, s82, s71                                    // 000000006034: 92524752
	s_mul_i32 s61, s60, s61                                    // 000000006038: 923D3D3C
	s_add_u32 s82, s82, s61                                    // 00000000603C: 80523D52
	v_mul_lo_u32 v6, v5, s82                                   // 000000006040: D2850006 0000A505
	v_readlane_b32 s82, v3, 5                                  // 000000006048: D2890052 00010B03
	s_lshr_b32 s61, s82, 24                                    // 000000006050: 8F3D9852
	s_and_b32 s82, s82, 0xffffff                               // 000000006054: 8652FF52 00FFFFFF
	s_mul_i32 s82, s82, s71                                    // 00000000605C: 92524752
	s_mul_i32 s61, s60, s61                                    // 000000006060: 923D3D3C
	s_add_u32 s82, s82, s61                                    // 000000006064: 80523D52
	v_mul_lo_u32 v7, v4, s82                                   // 000000006068: D2850007 0000A504
	v_add_u32_e32 v50, v6, v7                                  // 000000006070: 68640F06
	v_readlane_b32 s82, v3, 6                                  // 000000006074: D2890052 00010D03
	s_lshr_b32 s61, s82, 24                                    // 00000000607C: 8F3D9852
	s_and_b32 s82, s82, 0xffffff                               // 000000006080: 8652FF52 00FFFFFF
	s_mul_i32 s82, s82, s71                                    // 000000006088: 92524752
	s_mul_i32 s61, s60, s61                                    // 00000000608C: 923D3D3C
	s_add_u32 s82, s82, s61                                    // 000000006090: 80523D52
	v_mul_lo_u32 v6, v5, s82                                   // 000000006094: D2850006 0000A505
	v_readlane_b32 s82, v3, 7                                  // 00000000609C: D2890052 00010F03
	s_lshr_b32 s61, s82, 24                                    // 0000000060A4: 8F3D9852
	s_and_b32 s82, s82, 0xffffff                               // 0000000060A8: 8652FF52 00FFFFFF
	s_mul_i32 s82, s82, s71                                    // 0000000060B0: 92524752
	s_mul_i32 s61, s60, s61                                    // 0000000060B4: 923D3D3C
	s_add_u32 s82, s82, s61                                    // 0000000060B8: 80523D52
	v_mul_lo_u32 v7, v4, s82                                   // 0000000060BC: D2850007 0000A504
	v_add_u32_e32 v51, v6, v7                                  // 0000000060C4: 68660F06
	v_readlane_b32 s82, v3, 8                                  // 0000000060C8: D2890052 00011103
	s_lshr_b32 s61, s82, 24                                    // 0000000060D0: 8F3D9852
	s_and_b32 s82, s82, 0xffffff                               // 0000000060D4: 8652FF52 00FFFFFF
	s_mul_i32 s82, s82, s71                                    // 0000000060DC: 92524752
	s_mul_i32 s61, s60, s61                                    // 0000000060E0: 923D3D3C
	s_add_u32 s82, s82, s61                                    // 0000000060E4: 80523D52
	v_mul_lo_u32 v6, v5, s82                                   // 0000000060E8: D2850006 0000A505
	v_readlane_b32 s82, v3, 9                                  // 0000000060F0: D2890052 00011303
	s_lshr_b32 s61, s82, 24                                    // 0000000060F8: 8F3D9852
	s_and_b32 s82, s82, 0xffffff                               // 0000000060FC: 8652FF52 00FFFFFF
	s_mul_i32 s82, s82, s71                                    // 000000006104: 92524752
	s_mul_i32 s61, s60, s61                                    // 000000006108: 923D3D3C
	s_add_u32 s82, s82, s61                                    // 00000000610C: 80523D52
	v_mul_lo_u32 v7, v4, s82                                   // 000000006110: D2850007 0000A504
	v_add_u32_e32 v52, v6, v7                                  // 000000006118: 68680F06
	v_readlane_b32 s82, v3, 10                                 // 00000000611C: D2890052 00011503
	s_lshr_b32 s61, s82, 24                                    // 000000006124: 8F3D9852
	s_and_b32 s82, s82, 0xffffff                               // 000000006128: 8652FF52 00FFFFFF
	s_mul_i32 s82, s82, s71                                    // 000000006130: 92524752
	s_mul_i32 s61, s60, s61                                    // 000000006134: 923D3D3C
	s_add_u32 s82, s82, s61                                    // 000000006138: 80523D52
	v_mul_lo_u32 v6, v5, s82                                   // 00000000613C: D2850006 0000A505
	v_readlane_b32 s82, v3, 11                                 // 000000006144: D2890052 00011703
	s_lshr_b32 s61, s82, 24                                    // 00000000614C: 8F3D9852
	s_and_b32 s82, s82, 0xffffff                               // 000000006150: 8652FF52 00FFFFFF
	s_mul_i32 s82, s82, s71                                    // 000000006158: 92524752
	s_mul_i32 s61, s60, s61                                    // 00000000615C: 923D3D3C
	s_add_u32 s82, s82, s61                                    // 000000006160: 80523D52
	v_mul_lo_u32 v7, v4, s82                                   // 000000006164: D2850007 0000A504
	v_add_u32_e32 v53, v6, v7                                  // 00000000616C: 686A0F06
	v_readlane_b32 s82, v3, 12                                 // 000000006170: D2890052 00011903
	s_lshr_b32 s61, s82, 24                                    // 000000006178: 8F3D9852
	s_and_b32 s82, s82, 0xffffff                               // 00000000617C: 8652FF52 00FFFFFF
	s_mul_i32 s82, s82, s71                                    // 000000006184: 92524752
	s_mul_i32 s61, s60, s61                                    // 000000006188: 923D3D3C
	s_add_u32 s82, s82, s61                                    // 00000000618C: 80523D52
	v_mul_lo_u32 v6, v5, s82                                   // 000000006190: D2850006 0000A505
	v_readlane_b32 s82, v3, 13                                 // 000000006198: D2890052 00011B03
	s_lshr_b32 s61, s82, 24                                    // 0000000061A0: 8F3D9852
	s_and_b32 s82, s82, 0xffffff                               // 0000000061A4: 8652FF52 00FFFFFF
	s_mul_i32 s82, s82, s71                                    // 0000000061AC: 92524752
	s_mul_i32 s61, s60, s61                                    // 0000000061B0: 923D3D3C
	s_add_u32 s82, s82, s61                                    // 0000000061B4: 80523D52
	v_mul_lo_u32 v7, v4, s82                                   // 0000000061B8: D2850007 0000A504
	v_add_u32_e32 v54, v6, v7                                  // 0000000061C0: 686C0F06
	v_readlane_b32 s82, v3, 14                                 // 0000000061C4: D2890052 00011D03
	s_lshr_b32 s61, s82, 24                                    // 0000000061CC: 8F3D9852
	s_and_b32 s82, s82, 0xffffff                               // 0000000061D0: 8652FF52 00FFFFFF
	s_mul_i32 s82, s82, s71                                    // 0000000061D8: 92524752
	s_mul_i32 s61, s60, s61                                    // 0000000061DC: 923D3D3C
	s_add_u32 s82, s82, s61                                    // 0000000061E0: 80523D52
	v_mul_lo_u32 v6, v5, s82                                   // 0000000061E4: D2850006 0000A505
	v_readlane_b32 s82, v3, 15                                 // 0000000061EC: D2890052 00011F03
	s_lshr_b32 s61, s82, 24                                    // 0000000061F4: 8F3D9852
	s_and_b32 s82, s82, 0xffffff                               // 0000000061F8: 8652FF52 00FFFFFF
	s_mul_i32 s82, s82, s71                                    // 000000006200: 92524752
	s_mul_i32 s61, s60, s61                                    // 000000006204: 923D3D3C
	s_add_u32 s82, s82, s61                                    // 000000006208: 80523D52
	v_mul_lo_u32 v7, v4, s82                                   // 00000000620C: D2850007 0000A504
	v_add_u32_e32 v55, v6, v7                                  // 000000006214: 686E0F06
	v_readlane_b32 s82, v3, 16                                 // 000000006218: D2890052 00012103
	s_lshr_b32 s61, s82, 24                                    // 000000006220: 8F3D9852
	s_and_b32 s82, s82, 0xffffff                               // 000000006224: 8652FF52 00FFFFFF
	s_mul_i32 s82, s82, s71                                    // 00000000622C: 92524752
	s_mul_i32 s61, s60, s61                                    // 000000006230: 923D3D3C
	s_add_u32 s82, s82, s61                                    // 000000006234: 80523D52
	v_mul_lo_u32 v6, v5, s82                                   // 000000006238: D2850006 0000A505
	v_readlane_b32 s82, v3, 17                                 // 000000006240: D2890052 00012303
	s_lshr_b32 s61, s82, 24                                    // 000000006248: 8F3D9852
	s_and_b32 s82, s82, 0xffffff                               // 00000000624C: 8652FF52 00FFFFFF
	s_mul_i32 s82, s82, s71                                    // 000000006254: 92524752
	s_mul_i32 s61, s60, s61                                    // 000000006258: 923D3D3C
	s_add_u32 s82, s82, s61                                    // 00000000625C: 80523D52
	v_mul_lo_u32 v7, v4, s82                                   // 000000006260: D2850007 0000A504
	v_add_u32_e32 v56, v6, v7                                  // 000000006268: 68700F06
	v_readlane_b32 s82, v3, 18                                 // 00000000626C: D2890052 00012503
	s_lshr_b32 s61, s82, 24                                    // 000000006274: 8F3D9852
	s_and_b32 s82, s82, 0xffffff                               // 000000006278: 8652FF52 00FFFFFF
	s_mul_i32 s82, s82, s71                                    // 000000006280: 92524752
	s_mul_i32 s61, s60, s61                                    // 000000006284: 923D3D3C
	s_add_u32 s82, s82, s61                                    // 000000006288: 80523D52
	v_mul_lo_u32 v6, v5, s82                                   // 00000000628C: D2850006 0000A505
	v_readlane_b32 s82, v3, 19                                 // 000000006294: D2890052 00012703
	s_lshr_b32 s61, s82, 24                                    // 00000000629C: 8F3D9852
	s_and_b32 s82, s82, 0xffffff                               // 0000000062A0: 8652FF52 00FFFFFF
	s_mul_i32 s82, s82, s71                                    // 0000000062A8: 92524752
	s_mul_i32 s61, s60, s61                                    // 0000000062AC: 923D3D3C
	s_add_u32 s82, s82, s61                                    // 0000000062B0: 80523D52
	v_mul_lo_u32 v7, v4, s82                                   // 0000000062B4: D2850007 0000A504
	v_add_u32_e32 v57, v6, v7                                  // 0000000062BC: 68720F06
	v_and_b32_e32 v4, 31, v0                                   // 0000000062C0: 2608009F
	v_lshrrev_b32_e32 v4, 1, v4                                // 0000000062C4: 20080881
	s_cmp_eq_u32 s88, 0                                        // 0000000062C8: BF068058
	s_cselect_b32 s61, 2, 4                                    // 0000000062CC: 853D8482
	v_mul_lo_u32 v4, v4, s61                                   // 0000000062D0: D2850004 00007B04
	v_and_b32_e64 v5, v0, 1                                    // 0000000062D8: D1130005 00010300
	v_add_u32_e32 v4, v4, v5                                   // 0000000062E0: 68080B04
	v_lshlrev_b32_e32 v4, 2, v4                                // 0000000062E4: 24080882
	v_add_u32_e32 v48, v48, v4                                 // 0000000062E8: 68600930
	v_add_u32_e32 v49, v49, v4                                 // 0000000062EC: 68620931
	v_add_u32_e32 v50, v50, v4                                 // 0000000062F0: 68640932
	v_add_u32_e32 v51, v51, v4                                 // 0000000062F4: 68660933
	v_add_u32_e32 v52, v52, v4                                 // 0000000062F8: 68680934
	v_add_u32_e32 v53, v53, v4                                 // 0000000062FC: 686A0935
	v_add_u32_e32 v54, v54, v4                                 // 000000006300: 686C0936
	v_add_u32_e32 v55, v55, v4                                 // 000000006304: 686E0937
	v_add_u32_e32 v56, v56, v4                                 // 000000006308: 68700938
	v_add_u32_e32 v57, v57, v4                                 // 00000000630C: 68720939
	s_waitcnt lgkmcnt(0)                                       // 000000006310: BF8CC07F
	s_barrier                                                  // 000000006314: BF8A0000
	ds_read_b32 v60, v21                                       // 000000006318: D86C0000 3C000015
	ds_read_b32 v61, v21 offset:64                             // 000000006320: D86C0040 3D000015
	ds_read_b32 v64, v21 offset:2176                           // 000000006328: D86C0880 40000015
	ds_read_b32 v65, v21 offset:2240                           // 000000006330: D86C08C0 41000015
	ds_read_b32 v68, v21 offset:4352                           // 000000006338: D86C1100 44000015
	ds_read_b32 v69, v21 offset:4416                           // 000000006340: D86C1140 45000015
	ds_read_b32 v72, v21 offset:6528                           // 000000006348: D86C1980 48000015
	ds_read_b32 v73, v21 offset:6592                           // 000000006350: D86C19C0 49000015
	ds_read_b32 v76, v21 offset:8704                           // 000000006358: D86C2200 4C000015
	ds_read_b32 v77, v21 offset:8768                           // 000000006360: D86C2240 4D000015
	ds_read_b32 v80, v21 offset:10880                          // 000000006368: D86C2A80 50000015
	ds_read_b32 v81, v21 offset:10944                          // 000000006370: D86C2AC0 51000015
	ds_read_b32 v84, v21 offset:13056                          // 000000006378: D86C3300 54000015
	ds_read_b32 v85, v21 offset:13120                          // 000000006380: D86C3340 55000015
	ds_read_b32 v88, v21 offset:15232                          // 000000006388: D86C3B80 58000015
	ds_read_b32 v89, v21 offset:15296                          // 000000006390: D86C3BC0 59000015
	ds_read_b32 v92, v21 offset:17408                          // 000000006398: D86C4400 5C000015
	ds_read_b32 v93, v21 offset:17472                          // 0000000063A0: D86C4440 5D000015
	ds_read_b32 v96, v21 offset:19584                          // 0000000063A8: D86C4C80 60000015
	ds_read_b32 v97, v21 offset:19648                          // 0000000063B0: D86C4CC0 61000015
	s_waitcnt lgkmcnt(0)                                       // 0000000063B8: BF8CC07F
	s_mov_b32 s36, -1                                          // 0000000063BC: BEA400C1
	s_mov_b32 s37, -1                                          // 0000000063C0: BEA500C1
	v_mov_b32_e32 v7, 0                                        // 0000000063C4: 7E0E0280
	s_mov_b64 exec, s[36:37]                                   // 0000000063C8: BEFE0124
	v_mov_b32_e32 v6, v48                                      // 0000000063CC: 7E0C0330
	s_mov_b64 s[60:61], 0                                      // 0000000063D0: BEBC0180
	v_readlane_b32 s82, v3, 0                                  // 0000000063D4: D2890052 00010103
	s_and_b32 s82, s82, 0xffffff                               // 0000000063DC: 8652FF52 00FFFFFF
	s_cmp_lt_u32 s82, s66                                      // 0000000063E4: BF0A4252
	s_cselect_b32 s20, s36, s60                                // 0000000063E8: 85143C24
	v_readlane_b32 s82, v3, 1                                  // 0000000063EC: D2890052 00010303
	s_and_b32 s82, s82, 0xffffff                               // 0000000063F4: 8652FF52 00FFFFFF
	s_cmp_lt_u32 s82, s66                                      // 0000000063FC: BF0A4252
	s_cselect_b32 s21, s36, s60                                // 000000006400: 85153C24
	s_mov_b64 exec, s[20:21]                                   // 000000006404: BEFE0114
	global_atomic_add_f32 v6, v60, s[8:9]                      // 000000006408: DD348000 00083C06
	global_atomic_add_f32 v6, v64, s[8:9] offset:256           // 000000006410: DD348100 00084006
	s_mov_b64 exec, s[36:37]                                   // 000000006418: BEFE0124
	v_mov_b32_e32 v6, v49                                      // 00000000641C: 7E0C0331
	s_mov_b64 s[60:61], 0                                      // 000000006420: BEBC0180
	v_readlane_b32 s82, v3, 2                                  // 000000006424: D2890052 00010503
	s_and_b32 s82, s82, 0xffffff                               // 00000000642C: 8652FF52 00FFFFFF
	s_cmp_lt_u32 s82, s66                                      // 000000006434: BF0A4252
	s_cselect_b32 s20, s36, s60                                // 000000006438: 85143C24
	v_readlane_b32 s82, v3, 3                                  // 00000000643C: D2890052 00010703
	s_and_b32 s82, s82, 0xffffff                               // 000000006444: 8652FF52 00FFFFFF
	s_cmp_lt_u32 s82, s66                                      // 00000000644C: BF0A4252
	s_cselect_b32 s21, s36, s60                                // 000000006450: 85153C24
	s_mov_b64 exec, s[20:21]                                   // 000000006454: BEFE0114
	global_atomic_add_f32 v6, v61, s[8:9]                      // 000000006458: DD348000 00083D06
	global_atomic_add_f32 v6, v65, s[8:9] offset:256           // 000000006460: DD348100 00084106
	s_mov_b64 exec, s[36:37]                                   // 000000006468: BEFE0124
	v_mov_b32_e32 v6, v50                                      // 00000000646C: 7E0C0332
	s_mov_b64 s[60:61], 0                                      // 000000006470: BEBC0180
	v_readlane_b32 s82, v3, 4                                  // 000000006474: D2890052 00010903
	s_and_b32 s82, s82, 0xffffff                               // 00000000647C: 8652FF52 00FFFFFF
	s_cmp_lt_u32 s82, s66                                      // 000000006484: BF0A4252
	s_cselect_b32 s20, s36, s60                                // 000000006488: 85143C24
	v_readlane_b32 s82, v3, 5                                  // 00000000648C: D2890052 00010B03
	s_and_b32 s82, s82, 0xffffff                               // 000000006494: 8652FF52 00FFFFFF
	s_cmp_lt_u32 s82, s66                                      // 00000000649C: BF0A4252
	s_cselect_b32 s21, s36, s60                                // 0000000064A0: 85153C24
	s_mov_b64 exec, s[20:21]                                   // 0000000064A4: BEFE0114
	global_atomic_add_f32 v6, v68, s[8:9]                      // 0000000064A8: DD348000 00084406
	global_atomic_add_f32 v6, v72, s[8:9] offset:256           // 0000000064B0: DD348100 00084806
	s_mov_b64 exec, s[36:37]                                   // 0000000064B8: BEFE0124
	v_mov_b32_e32 v6, v51                                      // 0000000064BC: 7E0C0333
	s_mov_b64 s[60:61], 0                                      // 0000000064C0: BEBC0180
	v_readlane_b32 s82, v3, 6                                  // 0000000064C4: D2890052 00010D03
	s_and_b32 s82, s82, 0xffffff                               // 0000000064CC: 8652FF52 00FFFFFF
	s_cmp_lt_u32 s82, s66                                      // 0000000064D4: BF0A4252
	s_cselect_b32 s20, s36, s60                                // 0000000064D8: 85143C24
	v_readlane_b32 s82, v3, 7                                  // 0000000064DC: D2890052 00010F03
	s_and_b32 s82, s82, 0xffffff                               // 0000000064E4: 8652FF52 00FFFFFF
	s_cmp_lt_u32 s82, s66                                      // 0000000064EC: BF0A4252
	s_cselect_b32 s21, s36, s60                                // 0000000064F0: 85153C24
	s_mov_b64 exec, s[20:21]                                   // 0000000064F4: BEFE0114
	global_atomic_add_f32 v6, v69, s[8:9]                      // 0000000064F8: DD348000 00084506
	global_atomic_add_f32 v6, v73, s[8:9] offset:256           // 000000006500: DD348100 00084906
	s_mov_b64 exec, s[36:37]                                   // 000000006508: BEFE0124
	v_mov_b32_e32 v6, v52                                      // 00000000650C: 7E0C0334
	s_mov_b64 s[60:61], 0                                      // 000000006510: BEBC0180
	v_readlane_b32 s82, v3, 8                                  // 000000006514: D2890052 00011103
	s_and_b32 s82, s82, 0xffffff                               // 00000000651C: 8652FF52 00FFFFFF
	s_cmp_lt_u32 s82, s66                                      // 000000006524: BF0A4252
	s_cselect_b32 s20, s36, s60                                // 000000006528: 85143C24
	v_readlane_b32 s82, v3, 9                                  // 00000000652C: D2890052 00011303
	s_and_b32 s82, s82, 0xffffff                               // 000000006534: 8652FF52 00FFFFFF
	s_cmp_lt_u32 s82, s66                                      // 00000000653C: BF0A4252
	s_cselect_b32 s21, s36, s60                                // 000000006540: 85153C24
	s_mov_b64 exec, s[20:21]                                   // 000000006544: BEFE0114
	global_atomic_add_f32 v6, v76, s[8:9]                      // 000000006548: DD348000 00084C06
	global_atomic_add_f32 v6, v80, s[8:9] offset:256           // 000000006550: DD348100 00085006
	s_mov_b64 exec, s[36:37]                                   // 000000006558: BEFE0124
	v_mov_b32_e32 v6, v53                                      // 00000000655C: 7E0C0335
	s_mov_b64 s[60:61], 0                                      // 000000006560: BEBC0180
	v_readlane_b32 s82, v3, 10                                 // 000000006564: D2890052 00011503
	s_and_b32 s82, s82, 0xffffff                               // 00000000656C: 8652FF52 00FFFFFF
	s_cmp_lt_u32 s82, s66                                      // 000000006574: BF0A4252
	s_cselect_b32 s20, s36, s60                                // 000000006578: 85143C24
	v_readlane_b32 s82, v3, 11                                 // 00000000657C: D2890052 00011703
	s_and_b32 s82, s82, 0xffffff                               // 000000006584: 8652FF52 00FFFFFF
	s_cmp_lt_u32 s82, s66                                      // 00000000658C: BF0A4252
	s_cselect_b32 s21, s36, s60                                // 000000006590: 85153C24
	s_mov_b64 exec, s[20:21]                                   // 000000006594: BEFE0114
	global_atomic_add_f32 v6, v77, s[8:9]                      // 000000006598: DD348000 00084D06
	global_atomic_add_f32 v6, v81, s[8:9] offset:256           // 0000000065A0: DD348100 00085106
	s_mov_b64 exec, s[36:37]                                   // 0000000065A8: BEFE0124
	v_mov_b32_e32 v6, v54                                      // 0000000065AC: 7E0C0336
	s_mov_b64 s[60:61], 0                                      // 0000000065B0: BEBC0180
	v_readlane_b32 s82, v3, 12                                 // 0000000065B4: D2890052 00011903
	s_and_b32 s82, s82, 0xffffff                               // 0000000065BC: 8652FF52 00FFFFFF
	s_cmp_lt_u32 s82, s66                                      // 0000000065C4: BF0A4252
	s_cselect_b32 s20, s36, s60                                // 0000000065C8: 85143C24
	v_readlane_b32 s82, v3, 13                                 // 0000000065CC: D2890052 00011B03
	s_and_b32 s82, s82, 0xffffff                               // 0000000065D4: 8652FF52 00FFFFFF
	s_cmp_lt_u32 s82, s66                                      // 0000000065DC: BF0A4252
	s_cselect_b32 s21, s36, s60                                // 0000000065E0: 85153C24
	s_mov_b64 exec, s[20:21]                                   // 0000000065E4: BEFE0114
	global_atomic_add_f32 v6, v84, s[8:9]                      // 0000000065E8: DD348000 00085406
	global_atomic_add_f32 v6, v88, s[8:9] offset:256           // 0000000065F0: DD348100 00085806
	s_mov_b64 exec, s[36:37]                                   // 0000000065F8: BEFE0124
	v_mov_b32_e32 v6, v55                                      // 0000000065FC: 7E0C0337
	s_mov_b64 s[60:61], 0                                      // 000000006600: BEBC0180
	v_readlane_b32 s82, v3, 14                                 // 000000006604: D2890052 00011D03
	s_and_b32 s82, s82, 0xffffff                               // 00000000660C: 8652FF52 00FFFFFF
	s_cmp_lt_u32 s82, s66                                      // 000000006614: BF0A4252
	s_cselect_b32 s20, s36, s60                                // 000000006618: 85143C24
	v_readlane_b32 s82, v3, 15                                 // 00000000661C: D2890052 00011F03
	s_and_b32 s82, s82, 0xffffff                               // 000000006624: 8652FF52 00FFFFFF
	s_cmp_lt_u32 s82, s66                                      // 00000000662C: BF0A4252
	s_cselect_b32 s21, s36, s60                                // 000000006630: 85153C24
	s_mov_b64 exec, s[20:21]                                   // 000000006634: BEFE0114
	global_atomic_add_f32 v6, v85, s[8:9]                      // 000000006638: DD348000 00085506
	global_atomic_add_f32 v6, v89, s[8:9] offset:256           // 000000006640: DD348100 00085906
	s_mov_b64 exec, s[36:37]                                   // 000000006648: BEFE0124
	v_mov_b32_e32 v6, v56                                      // 00000000664C: 7E0C0338
	s_mov_b64 s[60:61], 0                                      // 000000006650: BEBC0180
	v_readlane_b32 s82, v3, 16                                 // 000000006654: D2890052 00012103
	s_and_b32 s82, s82, 0xffffff                               // 00000000665C: 8652FF52 00FFFFFF
	s_cmp_lt_u32 s82, s66                                      // 000000006664: BF0A4252
	s_cselect_b32 s20, s36, s60                                // 000000006668: 85143C24
	v_readlane_b32 s82, v3, 17                                 // 00000000666C: D2890052 00012303
	s_and_b32 s82, s82, 0xffffff                               // 000000006674: 8652FF52 00FFFFFF
	s_cmp_lt_u32 s82, s66                                      // 00000000667C: BF0A4252
	s_cselect_b32 s21, s36, s60                                // 000000006680: 85153C24
	s_mov_b64 exec, s[20:21]                                   // 000000006684: BEFE0114
	global_atomic_add_f32 v6, v92, s[8:9]                      // 000000006688: DD348000 00085C06
	global_atomic_add_f32 v6, v96, s[8:9] offset:256           // 000000006690: DD348100 00086006
	s_mov_b64 exec, s[36:37]                                   // 000000006698: BEFE0124
	v_mov_b32_e32 v6, v57                                      // 00000000669C: 7E0C0339
	s_mov_b64 s[60:61], 0                                      // 0000000066A0: BEBC0180
	v_readlane_b32 s82, v3, 18                                 // 0000000066A4: D2890052 00012503
	s_and_b32 s82, s82, 0xffffff                               // 0000000066AC: 8652FF52 00FFFFFF
	s_cmp_lt_u32 s82, s66                                      // 0000000066B4: BF0A4252
	s_cselect_b32 s20, s36, s60                                // 0000000066B8: 85143C24
	v_readlane_b32 s82, v3, 19                                 // 0000000066BC: D2890052 00012703
	s_and_b32 s82, s82, 0xffffff                               // 0000000066C4: 8652FF52 00FFFFFF
	s_cmp_lt_u32 s82, s66                                      // 0000000066CC: BF0A4252
	s_cselect_b32 s21, s36, s60                                // 0000000066D0: 85153C24
	s_mov_b64 exec, s[20:21]                                   // 0000000066D4: BEFE0114
	global_atomic_add_f32 v6, v93, s[8:9]                      // 0000000066D8: DD348000 00085D06
	global_atomic_add_f32 v6, v97, s[8:9] offset:256           // 0000000066E0: DD348100 00086106
	s_mov_b64 exec, s[36:37]                                   // 0000000066E8: BEFE0124
	ds_write_b64 v20, v[62:63]                                 // 0000000066EC: D89A0000 00003E14
	ds_write_b64 v20, v[66:67] offset:4352                     // 0000000066F4: D89A1100 00004214
	ds_write_b64 v20, v[70:71] offset:8704                     // 0000000066FC: D89A2200 00004614
	ds_write_b64 v20, v[74:75] offset:13056                    // 000000006704: D89A3300 00004A14
	ds_write_b64 v20, v[78:79] offset:17408                    // 00000000670C: D89A4400 00004E14
	ds_write_b64 v20, v[82:83] offset:2176                     // 000000006714: D89A0880 00005214
	ds_write_b64 v20, v[86:87] offset:6528                     // 00000000671C: D89A1980 00005614
	ds_write_b64 v20, v[90:91] offset:10880                    // 000000006724: D89A2A80 00005A14
	ds_write_b64 v20, v[94:95] offset:15232                    // 00000000672C: D89A3B80 00005E14
	ds_write_b64 v20, v[98:99] offset:19584                    // 000000006734: D89A4C80 00006214
	s_waitcnt lgkmcnt(0)                                       // 00000000673C: BF8CC07F
	s_barrier                                                  // 000000006740: BF8A0000
	ds_read_b32 v62, v21                                       // 000000006744: D86C0000 3E000015
	ds_read_b32 v63, v21 offset:64                             // 00000000674C: D86C0040 3F000015
	ds_read_b32 v66, v21 offset:2176                           // 000000006754: D86C0880 42000015
	ds_read_b32 v67, v21 offset:2240                           // 00000000675C: D86C08C0 43000015
	ds_read_b32 v70, v21 offset:4352                           // 000000006764: D86C1100 46000015
	ds_read_b32 v71, v21 offset:4416                           // 00000000676C: D86C1140 47000015
	ds_read_b32 v74, v21 offset:6528                           // 000000006774: D86C1980 4A000015
	ds_read_b32 v75, v21 offset:6592                           // 00000000677C: D86C19C0 4B000015
	ds_read_b32 v78, v21 offset:8704                           // 000000006784: D86C2200 4E000015
	ds_read_b32 v79, v21 offset:8768                           // 00000000678C: D86C2240 4F000015
	ds_read_b32 v82, v21 offset:10880                          // 000000006794: D86C2A80 52000015
	ds_read_b32 v83, v21 offset:10944                          // 00000000679C: D86C2AC0 53000015
	ds_read_b32 v86, v21 offset:13056                          // 0000000067A4: D86C3300 56000015
	ds_read_b32 v87, v21 offset:13120                          // 0000000067AC: D86C3340 57000015
	ds_read_b32 v90, v21 offset:15232                          // 0000000067B4: D86C3B80 5A000015
	ds_read_b32 v91, v21 offset:15296                          // 0000000067BC: D86C3BC0 5B000015
	ds_read_b32 v94, v21 offset:17408                          // 0000000067C4: D86C4400 5E000015
	ds_read_b32 v95, v21 offset:17472                          // 0000000067CC: D86C4440 5F000015
	ds_read_b32 v98, v21 offset:19584                          // 0000000067D4: D86C4C80 62000015
	ds_read_b32 v99, v21 offset:19648                          // 0000000067DC: D86C4CC0 63000015
	s_waitcnt lgkmcnt(0)                                       // 0000000067E4: BF8CC07F
	v_mov_b32_e32 v7, 0                                        // 0000000067E8: 7E0E0280
	s_mov_b64 exec, s[36:37]                                   // 0000000067EC: BEFE0124
	v_mov_b32_e32 v6, v48                                      // 0000000067F0: 7E0C0330
	s_mov_b64 s[60:61], 0                                      // 0000000067F4: BEBC0180
	v_readlane_b32 s82, v3, 0                                  // 0000000067F8: D2890052 00010103
	s_and_b32 s82, s82, 0xffffff                               // 000000006800: 8652FF52 00FFFFFF
	s_cmp_lt_u32 s82, s66                                      // 000000006808: BF0A4252
	s_cselect_b32 s20, s36, s60                                // 00000000680C: 85143C24
	v_readlane_b32 s82, v3, 1                                  // 000000006810: D2890052 00010303
	s_and_b32 s82, s82, 0xffffff                               // 000000006818: 8652FF52 00FFFFFF
	s_cmp_lt_u32 s82, s66                                      // 000000006820: BF0A4252
	s_cselect_b32 s21, s36, s60                                // 000000006824: 85153C24
	s_mov_b64 exec, s[20:21]                                   // 000000006828: BEFE0114
	global_atomic_add_f32 v6, v62, s[8:9] offset:8             // 00000000682C: DD348008 00083E06
	global_atomic_add_f32 v6, v66, s[8:9] offset:264           // 000000006834: DD348108 00084206
	s_mov_b64 exec, s[36:37]                                   // 00000000683C: BEFE0124
	v_mov_b32_e32 v6, v49                                      // 000000006840: 7E0C0331
	s_mov_b64 s[60:61], 0                                      // 000000006844: BEBC0180
	v_readlane_b32 s82, v3, 2                                  // 000000006848: D2890052 00010503
	s_and_b32 s82, s82, 0xffffff                               // 000000006850: 8652FF52 00FFFFFF
	s_cmp_lt_u32 s82, s66                                      // 000000006858: BF0A4252
	s_cselect_b32 s20, s36, s60                                // 00000000685C: 85143C24
	v_readlane_b32 s82, v3, 3                                  // 000000006860: D2890052 00010703
	s_and_b32 s82, s82, 0xffffff                               // 000000006868: 8652FF52 00FFFFFF
	s_cmp_lt_u32 s82, s66                                      // 000000006870: BF0A4252
	s_cselect_b32 s21, s36, s60                                // 000000006874: 85153C24
	s_mov_b64 exec, s[20:21]                                   // 000000006878: BEFE0114
	global_atomic_add_f32 v6, v63, s[8:9] offset:8             // 00000000687C: DD348008 00083F06
	global_atomic_add_f32 v6, v67, s[8:9] offset:264           // 000000006884: DD348108 00084306
	s_mov_b64 exec, s[36:37]                                   // 00000000688C: BEFE0124
	v_mov_b32_e32 v6, v50                                      // 000000006890: 7E0C0332
	s_mov_b64 s[60:61], 0                                      // 000000006894: BEBC0180
	v_readlane_b32 s82, v3, 4                                  // 000000006898: D2890052 00010903
	s_and_b32 s82, s82, 0xffffff                               // 0000000068A0: 8652FF52 00FFFFFF
	s_cmp_lt_u32 s82, s66                                      // 0000000068A8: BF0A4252
	s_cselect_b32 s20, s36, s60                                // 0000000068AC: 85143C24
	v_readlane_b32 s82, v3, 5                                  // 0000000068B0: D2890052 00010B03
	s_and_b32 s82, s82, 0xffffff                               // 0000000068B8: 8652FF52 00FFFFFF
	s_cmp_lt_u32 s82, s66                                      // 0000000068C0: BF0A4252
	s_cselect_b32 s21, s36, s60                                // 0000000068C4: 85153C24
	s_mov_b64 exec, s[20:21]                                   // 0000000068C8: BEFE0114
	global_atomic_add_f32 v6, v70, s[8:9] offset:8             // 0000000068CC: DD348008 00084606
	global_atomic_add_f32 v6, v74, s[8:9] offset:264           // 0000000068D4: DD348108 00084A06
	s_mov_b64 exec, s[36:37]                                   // 0000000068DC: BEFE0124
	v_mov_b32_e32 v6, v51                                      // 0000000068E0: 7E0C0333
	s_mov_b64 s[60:61], 0                                      // 0000000068E4: BEBC0180
	v_readlane_b32 s82, v3, 6                                  // 0000000068E8: D2890052 00010D03
	s_and_b32 s82, s82, 0xffffff                               // 0000000068F0: 8652FF52 00FFFFFF
	s_cmp_lt_u32 s82, s66                                      // 0000000068F8: BF0A4252
	s_cselect_b32 s20, s36, s60                                // 0000000068FC: 85143C24
	v_readlane_b32 s82, v3, 7                                  // 000000006900: D2890052 00010F03
	s_and_b32 s82, s82, 0xffffff                               // 000000006908: 8652FF52 00FFFFFF
	s_cmp_lt_u32 s82, s66                                      // 000000006910: BF0A4252
	s_cselect_b32 s21, s36, s60                                // 000000006914: 85153C24
	s_mov_b64 exec, s[20:21]                                   // 000000006918: BEFE0114
	global_atomic_add_f32 v6, v71, s[8:9] offset:8             // 00000000691C: DD348008 00084706
	global_atomic_add_f32 v6, v75, s[8:9] offset:264           // 000000006924: DD348108 00084B06
	s_mov_b64 exec, s[36:37]                                   // 00000000692C: BEFE0124
	v_mov_b32_e32 v6, v52                                      // 000000006930: 7E0C0334
	s_mov_b64 s[60:61], 0                                      // 000000006934: BEBC0180
	v_readlane_b32 s82, v3, 8                                  // 000000006938: D2890052 00011103
	s_and_b32 s82, s82, 0xffffff                               // 000000006940: 8652FF52 00FFFFFF
	s_cmp_lt_u32 s82, s66                                      // 000000006948: BF0A4252
	s_cselect_b32 s20, s36, s60                                // 00000000694C: 85143C24
	v_readlane_b32 s82, v3, 9                                  // 000000006950: D2890052 00011303
	s_and_b32 s82, s82, 0xffffff                               // 000000006958: 8652FF52 00FFFFFF
	s_cmp_lt_u32 s82, s66                                      // 000000006960: BF0A4252
	s_cselect_b32 s21, s36, s60                                // 000000006964: 85153C24
	s_mov_b64 exec, s[20:21]                                   // 000000006968: BEFE0114
	global_atomic_add_f32 v6, v78, s[8:9] offset:8             // 00000000696C: DD348008 00084E06
	global_atomic_add_f32 v6, v82, s[8:9] offset:264           // 000000006974: DD348108 00085206
	s_mov_b64 exec, s[36:37]                                   // 00000000697C: BEFE0124
	v_mov_b32_e32 v6, v53                                      // 000000006980: 7E0C0335
	s_mov_b64 s[60:61], 0                                      // 000000006984: BEBC0180
	v_readlane_b32 s82, v3, 10                                 // 000000006988: D2890052 00011503
	s_and_b32 s82, s82, 0xffffff                               // 000000006990: 8652FF52 00FFFFFF
	s_cmp_lt_u32 s82, s66                                      // 000000006998: BF0A4252
	s_cselect_b32 s20, s36, s60                                // 00000000699C: 85143C24
	v_readlane_b32 s82, v3, 11                                 // 0000000069A0: D2890052 00011703
	s_and_b32 s82, s82, 0xffffff                               // 0000000069A8: 8652FF52 00FFFFFF
	s_cmp_lt_u32 s82, s66                                      // 0000000069B0: BF0A4252
	s_cselect_b32 s21, s36, s60                                // 0000000069B4: 85153C24
	s_mov_b64 exec, s[20:21]                                   // 0000000069B8: BEFE0114
	global_atomic_add_f32 v6, v79, s[8:9] offset:8             // 0000000069BC: DD348008 00084F06
	global_atomic_add_f32 v6, v83, s[8:9] offset:264           // 0000000069C4: DD348108 00085306
	s_mov_b64 exec, s[36:37]                                   // 0000000069CC: BEFE0124
	v_mov_b32_e32 v6, v54                                      // 0000000069D0: 7E0C0336
	s_mov_b64 s[60:61], 0                                      // 0000000069D4: BEBC0180
	v_readlane_b32 s82, v3, 12                                 // 0000000069D8: D2890052 00011903
	s_and_b32 s82, s82, 0xffffff                               // 0000000069E0: 8652FF52 00FFFFFF
	s_cmp_lt_u32 s82, s66                                      // 0000000069E8: BF0A4252
	s_cselect_b32 s20, s36, s60                                // 0000000069EC: 85143C24
	v_readlane_b32 s82, v3, 13                                 // 0000000069F0: D2890052 00011B03
	s_and_b32 s82, s82, 0xffffff                               // 0000000069F8: 8652FF52 00FFFFFF
	s_cmp_lt_u32 s82, s66                                      // 000000006A00: BF0A4252
	s_cselect_b32 s21, s36, s60                                // 000000006A04: 85153C24
	s_mov_b64 exec, s[20:21]                                   // 000000006A08: BEFE0114
	global_atomic_add_f32 v6, v86, s[8:9] offset:8             // 000000006A0C: DD348008 00085606
	global_atomic_add_f32 v6, v90, s[8:9] offset:264           // 000000006A14: DD348108 00085A06
	s_mov_b64 exec, s[36:37]                                   // 000000006A1C: BEFE0124
	v_mov_b32_e32 v6, v55                                      // 000000006A20: 7E0C0337
	s_mov_b64 s[60:61], 0                                      // 000000006A24: BEBC0180
	v_readlane_b32 s82, v3, 14                                 // 000000006A28: D2890052 00011D03
	s_and_b32 s82, s82, 0xffffff                               // 000000006A30: 8652FF52 00FFFFFF
	s_cmp_lt_u32 s82, s66                                      // 000000006A38: BF0A4252
	s_cselect_b32 s20, s36, s60                                // 000000006A3C: 85143C24
	v_readlane_b32 s82, v3, 15                                 // 000000006A40: D2890052 00011F03
	s_and_b32 s82, s82, 0xffffff                               // 000000006A48: 8652FF52 00FFFFFF
	s_cmp_lt_u32 s82, s66                                      // 000000006A50: BF0A4252
	s_cselect_b32 s21, s36, s60                                // 000000006A54: 85153C24
	s_mov_b64 exec, s[20:21]                                   // 000000006A58: BEFE0114
	global_atomic_add_f32 v6, v87, s[8:9] offset:8             // 000000006A5C: DD348008 00085706
	global_atomic_add_f32 v6, v91, s[8:9] offset:264           // 000000006A64: DD348108 00085B06
	s_mov_b64 exec, s[36:37]                                   // 000000006A6C: BEFE0124
	v_mov_b32_e32 v6, v56                                      // 000000006A70: 7E0C0338
	s_mov_b64 s[60:61], 0                                      // 000000006A74: BEBC0180
	v_readlane_b32 s82, v3, 16                                 // 000000006A78: D2890052 00012103
	s_and_b32 s82, s82, 0xffffff                               // 000000006A80: 8652FF52 00FFFFFF
	s_cmp_lt_u32 s82, s66                                      // 000000006A88: BF0A4252
	s_cselect_b32 s20, s36, s60                                // 000000006A8C: 85143C24
	v_readlane_b32 s82, v3, 17                                 // 000000006A90: D2890052 00012303
	s_and_b32 s82, s82, 0xffffff                               // 000000006A98: 8652FF52 00FFFFFF
	s_cmp_lt_u32 s82, s66                                      // 000000006AA0: BF0A4252
	s_cselect_b32 s21, s36, s60                                // 000000006AA4: 85153C24
	s_mov_b64 exec, s[20:21]                                   // 000000006AA8: BEFE0114
	global_atomic_add_f32 v6, v94, s[8:9] offset:8             // 000000006AAC: DD348008 00085E06
	global_atomic_add_f32 v6, v98, s[8:9] offset:264           // 000000006AB4: DD348108 00086206
	s_mov_b64 exec, s[36:37]                                   // 000000006ABC: BEFE0124
	v_mov_b32_e32 v6, v57                                      // 000000006AC0: 7E0C0339
	s_mov_b64 s[60:61], 0                                      // 000000006AC4: BEBC0180
	v_readlane_b32 s82, v3, 18                                 // 000000006AC8: D2890052 00012503
	s_and_b32 s82, s82, 0xffffff                               // 000000006AD0: 8652FF52 00FFFFFF
	s_cmp_lt_u32 s82, s66                                      // 000000006AD8: BF0A4252
	s_cselect_b32 s20, s36, s60                                // 000000006ADC: 85143C24
	v_readlane_b32 s82, v3, 19                                 // 000000006AE0: D2890052 00012703
	s_and_b32 s82, s82, 0xffffff                               // 000000006AE8: 8652FF52 00FFFFFF
	s_cmp_lt_u32 s82, s66                                      // 000000006AF0: BF0A4252
	s_cselect_b32 s21, s36, s60                                // 000000006AF4: 85153C24
	s_mov_b64 exec, s[20:21]                                   // 000000006AF8: BEFE0114
	global_atomic_add_f32 v6, v95, s[8:9] offset:8             // 000000006AFC: DD348008 00085F06
	global_atomic_add_f32 v6, v99, s[8:9] offset:264           // 000000006B04: DD348108 00086306
	s_mov_b64 exec, s[36:37]                                   // 000000006B0C: BEFE0124
	ds_write_b64 v20, v[100:101]                               // 000000006B10: D89A0000 00006414
	ds_write_b64 v20, v[104:105] offset:4352                   // 000000006B18: D89A1100 00006814
	ds_write_b64 v20, v[108:109] offset:8704                   // 000000006B20: D89A2200 00006C14
	ds_write_b64 v20, v[112:113] offset:13056                  // 000000006B28: D89A3300 00007014
	ds_write_b64 v20, v[116:117] offset:17408                  // 000000006B30: D89A4400 00007414
	ds_write_b64 v20, v[120:121] offset:2176                   // 000000006B38: D89A0880 00007814
	ds_write_b64 v20, v[124:125] offset:6528                   // 000000006B40: D89A1980 00007C14
	ds_write_b64 v20, v[128:129] offset:10880                  // 000000006B48: D89A2A80 00008014
	ds_write_b64 v20, v[132:133] offset:15232                  // 000000006B50: D89A3B80 00008414
	ds_write_b64 v20, v[136:137] offset:19584                  // 000000006B58: D89A4C80 00008814
	s_waitcnt lgkmcnt(0)                                       // 000000006B60: BF8CC07F
	s_barrier                                                  // 000000006B64: BF8A0000
	ds_read_b32 v100, v21                                      // 000000006B68: D86C0000 64000015
	ds_read_b32 v101, v21 offset:64                            // 000000006B70: D86C0040 65000015
	ds_read_b32 v104, v21 offset:2176                          // 000000006B78: D86C0880 68000015
	ds_read_b32 v105, v21 offset:2240                          // 000000006B80: D86C08C0 69000015
	ds_read_b32 v108, v21 offset:4352                          // 000000006B88: D86C1100 6C000015
	ds_read_b32 v109, v21 offset:4416                          // 000000006B90: D86C1140 6D000015
	ds_read_b32 v112, v21 offset:6528                          // 000000006B98: D86C1980 70000015
	ds_read_b32 v113, v21 offset:6592                          // 000000006BA0: D86C19C0 71000015
	ds_read_b32 v116, v21 offset:8704                          // 000000006BA8: D86C2200 74000015
	ds_read_b32 v117, v21 offset:8768                          // 000000006BB0: D86C2240 75000015
	ds_read_b32 v120, v21 offset:10880                         // 000000006BB8: D86C2A80 78000015
	ds_read_b32 v121, v21 offset:10944                         // 000000006BC0: D86C2AC0 79000015
	ds_read_b32 v124, v21 offset:13056                         // 000000006BC8: D86C3300 7C000015
	ds_read_b32 v125, v21 offset:13120                         // 000000006BD0: D86C3340 7D000015
	ds_read_b32 v128, v21 offset:15232                         // 000000006BD8: D86C3B80 80000015
	ds_read_b32 v129, v21 offset:15296                         // 000000006BE0: D86C3BC0 81000015
	ds_read_b32 v132, v21 offset:17408                         // 000000006BE8: D86C4400 84000015
	ds_read_b32 v133, v21 offset:17472                         // 000000006BF0: D86C4440 85000015
	ds_read_b32 v136, v21 offset:19584                         // 000000006BF8: D86C4C80 88000015
	ds_read_b32 v137, v21 offset:19648                         // 000000006C00: D86C4CC0 89000015
	s_mul_i32 s60, s65, 4                                      // 000000006C08: 923C8441
	s_add_u32 s8, s60, s8                                      // 000000006C0C: 8008083C
	s_addc_u32 s9, 0, s9                                       // 000000006C10: 82090980
	s_waitcnt lgkmcnt(0)                                       // 000000006C14: BF8CC07F
	v_mov_b32_e32 v7, 0                                        // 000000006C18: 7E0E0280
	s_mov_b64 exec, s[36:37]                                   // 000000006C1C: BEFE0124
	v_mov_b32_e32 v6, v48                                      // 000000006C20: 7E0C0330
	s_mov_b64 s[60:61], 0                                      // 000000006C24: BEBC0180
	v_readlane_b32 s82, v3, 0                                  // 000000006C28: D2890052 00010103
	s_and_b32 s82, s82, 0xffffff                               // 000000006C30: 8652FF52 00FFFFFF
	s_cmp_lt_u32 s82, s66                                      // 000000006C38: BF0A4252
	s_cselect_b32 s20, s36, s60                                // 000000006C3C: 85143C24
	v_readlane_b32 s82, v3, 1                                  // 000000006C40: D2890052 00010303
	s_and_b32 s82, s82, 0xffffff                               // 000000006C48: 8652FF52 00FFFFFF
	s_cmp_lt_u32 s82, s66                                      // 000000006C50: BF0A4252
	s_cselect_b32 s21, s36, s60                                // 000000006C54: 85153C24
	s_mov_b64 exec, s[20:21]                                   // 000000006C58: BEFE0114
	global_atomic_add_f32 v6, v100, s[8:9]                     // 000000006C5C: DD348000 00086406
	global_atomic_add_f32 v6, v104, s[8:9] offset:256          // 000000006C64: DD348100 00086806
	s_mov_b64 exec, s[36:37]                                   // 000000006C6C: BEFE0124
	v_mov_b32_e32 v6, v49                                      // 000000006C70: 7E0C0331
	s_mov_b64 s[60:61], 0                                      // 000000006C74: BEBC0180
	v_readlane_b32 s82, v3, 2                                  // 000000006C78: D2890052 00010503
	s_and_b32 s82, s82, 0xffffff                               // 000000006C80: 8652FF52 00FFFFFF
	s_cmp_lt_u32 s82, s66                                      // 000000006C88: BF0A4252
	s_cselect_b32 s20, s36, s60                                // 000000006C8C: 85143C24
	v_readlane_b32 s82, v3, 3                                  // 000000006C90: D2890052 00010703
	s_and_b32 s82, s82, 0xffffff                               // 000000006C98: 8652FF52 00FFFFFF
	s_cmp_lt_u32 s82, s66                                      // 000000006CA0: BF0A4252
	s_cselect_b32 s21, s36, s60                                // 000000006CA4: 85153C24
	s_mov_b64 exec, s[20:21]                                   // 000000006CA8: BEFE0114
	global_atomic_add_f32 v6, v101, s[8:9]                     // 000000006CAC: DD348000 00086506
	global_atomic_add_f32 v6, v105, s[8:9] offset:256          // 000000006CB4: DD348100 00086906
	s_mov_b64 exec, s[36:37]                                   // 000000006CBC: BEFE0124
	v_mov_b32_e32 v6, v50                                      // 000000006CC0: 7E0C0332
	s_mov_b64 s[60:61], 0                                      // 000000006CC4: BEBC0180
	v_readlane_b32 s82, v3, 4                                  // 000000006CC8: D2890052 00010903
	s_and_b32 s82, s82, 0xffffff                               // 000000006CD0: 8652FF52 00FFFFFF
	s_cmp_lt_u32 s82, s66                                      // 000000006CD8: BF0A4252
	s_cselect_b32 s20, s36, s60                                // 000000006CDC: 85143C24
	v_readlane_b32 s82, v3, 5                                  // 000000006CE0: D2890052 00010B03
	s_and_b32 s82, s82, 0xffffff                               // 000000006CE8: 8652FF52 00FFFFFF
	s_cmp_lt_u32 s82, s66                                      // 000000006CF0: BF0A4252
	s_cselect_b32 s21, s36, s60                                // 000000006CF4: 85153C24
	s_mov_b64 exec, s[20:21]                                   // 000000006CF8: BEFE0114
	global_atomic_add_f32 v6, v108, s[8:9]                     // 000000006CFC: DD348000 00086C06
	global_atomic_add_f32 v6, v112, s[8:9] offset:256          // 000000006D04: DD348100 00087006
	s_mov_b64 exec, s[36:37]                                   // 000000006D0C: BEFE0124
	v_mov_b32_e32 v6, v51                                      // 000000006D10: 7E0C0333
	s_mov_b64 s[60:61], 0                                      // 000000006D14: BEBC0180
	v_readlane_b32 s82, v3, 6                                  // 000000006D18: D2890052 00010D03
	s_and_b32 s82, s82, 0xffffff                               // 000000006D20: 8652FF52 00FFFFFF
	s_cmp_lt_u32 s82, s66                                      // 000000006D28: BF0A4252
	s_cselect_b32 s20, s36, s60                                // 000000006D2C: 85143C24
	v_readlane_b32 s82, v3, 7                                  // 000000006D30: D2890052 00010F03
	s_and_b32 s82, s82, 0xffffff                               // 000000006D38: 8652FF52 00FFFFFF
	s_cmp_lt_u32 s82, s66                                      // 000000006D40: BF0A4252
	s_cselect_b32 s21, s36, s60                                // 000000006D44: 85153C24
	s_mov_b64 exec, s[20:21]                                   // 000000006D48: BEFE0114
	global_atomic_add_f32 v6, v109, s[8:9]                     // 000000006D4C: DD348000 00086D06
	global_atomic_add_f32 v6, v113, s[8:9] offset:256          // 000000006D54: DD348100 00087106
	s_mov_b64 exec, s[36:37]                                   // 000000006D5C: BEFE0124
	v_mov_b32_e32 v6, v52                                      // 000000006D60: 7E0C0334
	s_mov_b64 s[60:61], 0                                      // 000000006D64: BEBC0180
	v_readlane_b32 s82, v3, 8                                  // 000000006D68: D2890052 00011103
	s_and_b32 s82, s82, 0xffffff                               // 000000006D70: 8652FF52 00FFFFFF
	s_cmp_lt_u32 s82, s66                                      // 000000006D78: BF0A4252
	s_cselect_b32 s20, s36, s60                                // 000000006D7C: 85143C24
	v_readlane_b32 s82, v3, 9                                  // 000000006D80: D2890052 00011303
	s_and_b32 s82, s82, 0xffffff                               // 000000006D88: 8652FF52 00FFFFFF
	s_cmp_lt_u32 s82, s66                                      // 000000006D90: BF0A4252
	s_cselect_b32 s21, s36, s60                                // 000000006D94: 85153C24
	s_mov_b64 exec, s[20:21]                                   // 000000006D98: BEFE0114
	global_atomic_add_f32 v6, v116, s[8:9]                     // 000000006D9C: DD348000 00087406
	global_atomic_add_f32 v6, v120, s[8:9] offset:256          // 000000006DA4: DD348100 00087806
	s_mov_b64 exec, s[36:37]                                   // 000000006DAC: BEFE0124
	v_mov_b32_e32 v6, v53                                      // 000000006DB0: 7E0C0335
	s_mov_b64 s[60:61], 0                                      // 000000006DB4: BEBC0180
	v_readlane_b32 s82, v3, 10                                 // 000000006DB8: D2890052 00011503
	s_and_b32 s82, s82, 0xffffff                               // 000000006DC0: 8652FF52 00FFFFFF
	s_cmp_lt_u32 s82, s66                                      // 000000006DC8: BF0A4252
	s_cselect_b32 s20, s36, s60                                // 000000006DCC: 85143C24
	v_readlane_b32 s82, v3, 11                                 // 000000006DD0: D2890052 00011703
	s_and_b32 s82, s82, 0xffffff                               // 000000006DD8: 8652FF52 00FFFFFF
	s_cmp_lt_u32 s82, s66                                      // 000000006DE0: BF0A4252
	s_cselect_b32 s21, s36, s60                                // 000000006DE4: 85153C24
	s_mov_b64 exec, s[20:21]                                   // 000000006DE8: BEFE0114
	global_atomic_add_f32 v6, v117, s[8:9]                     // 000000006DEC: DD348000 00087506
	global_atomic_add_f32 v6, v121, s[8:9] offset:256          // 000000006DF4: DD348100 00087906
	s_mov_b64 exec, s[36:37]                                   // 000000006DFC: BEFE0124
	v_mov_b32_e32 v6, v54                                      // 000000006E00: 7E0C0336
	s_mov_b64 s[60:61], 0                                      // 000000006E04: BEBC0180
	v_readlane_b32 s82, v3, 12                                 // 000000006E08: D2890052 00011903
	s_and_b32 s82, s82, 0xffffff                               // 000000006E10: 8652FF52 00FFFFFF
	s_cmp_lt_u32 s82, s66                                      // 000000006E18: BF0A4252
	s_cselect_b32 s20, s36, s60                                // 000000006E1C: 85143C24
	v_readlane_b32 s82, v3, 13                                 // 000000006E20: D2890052 00011B03
	s_and_b32 s82, s82, 0xffffff                               // 000000006E28: 8652FF52 00FFFFFF
	s_cmp_lt_u32 s82, s66                                      // 000000006E30: BF0A4252
	s_cselect_b32 s21, s36, s60                                // 000000006E34: 85153C24
	s_mov_b64 exec, s[20:21]                                   // 000000006E38: BEFE0114
	global_atomic_add_f32 v6, v124, s[8:9]                     // 000000006E3C: DD348000 00087C06
	global_atomic_add_f32 v6, v128, s[8:9] offset:256          // 000000006E44: DD348100 00088006
	s_mov_b64 exec, s[36:37]                                   // 000000006E4C: BEFE0124
	v_mov_b32_e32 v6, v55                                      // 000000006E50: 7E0C0337
	s_mov_b64 s[60:61], 0                                      // 000000006E54: BEBC0180
	v_readlane_b32 s82, v3, 14                                 // 000000006E58: D2890052 00011D03
	s_and_b32 s82, s82, 0xffffff                               // 000000006E60: 8652FF52 00FFFFFF
	s_cmp_lt_u32 s82, s66                                      // 000000006E68: BF0A4252
	s_cselect_b32 s20, s36, s60                                // 000000006E6C: 85143C24
	v_readlane_b32 s82, v3, 15                                 // 000000006E70: D2890052 00011F03
	s_and_b32 s82, s82, 0xffffff                               // 000000006E78: 8652FF52 00FFFFFF
	s_cmp_lt_u32 s82, s66                                      // 000000006E80: BF0A4252
	s_cselect_b32 s21, s36, s60                                // 000000006E84: 85153C24
	s_mov_b64 exec, s[20:21]                                   // 000000006E88: BEFE0114
	global_atomic_add_f32 v6, v125, s[8:9]                     // 000000006E8C: DD348000 00087D06
	global_atomic_add_f32 v6, v129, s[8:9] offset:256          // 000000006E94: DD348100 00088106
	s_mov_b64 exec, s[36:37]                                   // 000000006E9C: BEFE0124
	v_mov_b32_e32 v6, v56                                      // 000000006EA0: 7E0C0338
	s_mov_b64 s[60:61], 0                                      // 000000006EA4: BEBC0180
	v_readlane_b32 s82, v3, 16                                 // 000000006EA8: D2890052 00012103
	s_and_b32 s82, s82, 0xffffff                               // 000000006EB0: 8652FF52 00FFFFFF
	s_cmp_lt_u32 s82, s66                                      // 000000006EB8: BF0A4252
	s_cselect_b32 s20, s36, s60                                // 000000006EBC: 85143C24
	v_readlane_b32 s82, v3, 17                                 // 000000006EC0: D2890052 00012303
	s_and_b32 s82, s82, 0xffffff                               // 000000006EC8: 8652FF52 00FFFFFF
	s_cmp_lt_u32 s82, s66                                      // 000000006ED0: BF0A4252
	s_cselect_b32 s21, s36, s60                                // 000000006ED4: 85153C24
	s_mov_b64 exec, s[20:21]                                   // 000000006ED8: BEFE0114
	global_atomic_add_f32 v6, v132, s[8:9]                     // 000000006EDC: DD348000 00088406
	global_atomic_add_f32 v6, v136, s[8:9] offset:256          // 000000006EE4: DD348100 00088806
	s_mov_b64 exec, s[36:37]                                   // 000000006EEC: BEFE0124
	v_mov_b32_e32 v6, v57                                      // 000000006EF0: 7E0C0339
	s_mov_b64 s[60:61], 0                                      // 000000006EF4: BEBC0180
	v_readlane_b32 s82, v3, 18                                 // 000000006EF8: D2890052 00012503
	s_and_b32 s82, s82, 0xffffff                               // 000000006F00: 8652FF52 00FFFFFF
	s_cmp_lt_u32 s82, s66                                      // 000000006F08: BF0A4252
	s_cselect_b32 s20, s36, s60                                // 000000006F0C: 85143C24
	v_readlane_b32 s82, v3, 19                                 // 000000006F10: D2890052 00012703
	s_and_b32 s82, s82, 0xffffff                               // 000000006F18: 8652FF52 00FFFFFF
	s_cmp_lt_u32 s82, s66                                      // 000000006F20: BF0A4252
	s_cselect_b32 s21, s36, s60                                // 000000006F24: 85153C24
	s_mov_b64 exec, s[20:21]                                   // 000000006F28: BEFE0114
	global_atomic_add_f32 v6, v133, s[8:9]                     // 000000006F2C: DD348000 00088506
	global_atomic_add_f32 v6, v137, s[8:9] offset:256          // 000000006F34: DD348100 00088906
	s_mov_b64 exec, s[36:37]                                   // 000000006F3C: BEFE0124
	ds_write_b64 v20, v[102:103]                               // 000000006F40: D89A0000 00006614
	ds_write_b64 v20, v[106:107] offset:4352                   // 000000006F48: D89A1100 00006A14
	ds_write_b64 v20, v[110:111] offset:8704                   // 000000006F50: D89A2200 00006E14
	ds_write_b64 v20, v[114:115] offset:13056                  // 000000006F58: D89A3300 00007214
	ds_write_b64 v20, v[118:119] offset:17408                  // 000000006F60: D89A4400 00007614
	ds_write_b64 v20, v[122:123] offset:2176                   // 000000006F68: D89A0880 00007A14
	ds_write_b64 v20, v[126:127] offset:6528                   // 000000006F70: D89A1980 00007E14
	ds_write_b64 v20, v[130:131] offset:10880                  // 000000006F78: D89A2A80 00008214
	ds_write_b64 v20, v[134:135] offset:15232                  // 000000006F80: D89A3B80 00008614
	ds_write_b64 v20, v[138:139] offset:19584                  // 000000006F88: D89A4C80 00008A14
	s_waitcnt lgkmcnt(0)                                       // 000000006F90: BF8CC07F
	s_barrier                                                  // 000000006F94: BF8A0000
	ds_read_b32 v102, v21                                      // 000000006F98: D86C0000 66000015
	ds_read_b32 v103, v21 offset:64                            // 000000006FA0: D86C0040 67000015
	ds_read_b32 v106, v21 offset:2176                          // 000000006FA8: D86C0880 6A000015
	ds_read_b32 v107, v21 offset:2240                          // 000000006FB0: D86C08C0 6B000015
	ds_read_b32 v110, v21 offset:4352                          // 000000006FB8: D86C1100 6E000015
	ds_read_b32 v111, v21 offset:4416                          // 000000006FC0: D86C1140 6F000015
	ds_read_b32 v114, v21 offset:6528                          // 000000006FC8: D86C1980 72000015
	ds_read_b32 v115, v21 offset:6592                          // 000000006FD0: D86C19C0 73000015
	ds_read_b32 v118, v21 offset:8704                          // 000000006FD8: D86C2200 76000015
	ds_read_b32 v119, v21 offset:8768                          // 000000006FE0: D86C2240 77000015
	ds_read_b32 v122, v21 offset:10880                         // 000000006FE8: D86C2A80 7A000015
	ds_read_b32 v123, v21 offset:10944                         // 000000006FF0: D86C2AC0 7B000015
	ds_read_b32 v126, v21 offset:13056                         // 000000006FF8: D86C3300 7E000015
	ds_read_b32 v127, v21 offset:13120                         // 000000007000: D86C3340 7F000015
	ds_read_b32 v130, v21 offset:15232                         // 000000007008: D86C3B80 82000015
	ds_read_b32 v131, v21 offset:15296                         // 000000007010: D86C3BC0 83000015
	ds_read_b32 v134, v21 offset:17408                         // 000000007018: D86C4400 86000015
	ds_read_b32 v135, v21 offset:17472                         // 000000007020: D86C4440 87000015
	ds_read_b32 v138, v21 offset:19584                         // 000000007028: D86C4C80 8A000015
	ds_read_b32 v139, v21 offset:19648                         // 000000007030: D86C4CC0 8B000015
	s_waitcnt lgkmcnt(0)                                       // 000000007038: BF8CC07F
	v_mov_b32_e32 v7, 0                                        // 00000000703C: 7E0E0280
	s_mov_b64 exec, s[36:37]                                   // 000000007040: BEFE0124
	v_mov_b32_e32 v6, v48                                      // 000000007044: 7E0C0330
	s_mov_b64 s[60:61], 0                                      // 000000007048: BEBC0180
	v_readlane_b32 s82, v3, 0                                  // 00000000704C: D2890052 00010103
	s_and_b32 s82, s82, 0xffffff                               // 000000007054: 8652FF52 00FFFFFF
	s_cmp_lt_u32 s82, s66                                      // 00000000705C: BF0A4252
	s_cselect_b32 s20, s36, s60                                // 000000007060: 85143C24
	v_readlane_b32 s82, v3, 1                                  // 000000007064: D2890052 00010303
	s_and_b32 s82, s82, 0xffffff                               // 00000000706C: 8652FF52 00FFFFFF
	s_cmp_lt_u32 s82, s66                                      // 000000007074: BF0A4252
	s_cselect_b32 s21, s36, s60                                // 000000007078: 85153C24
	s_mov_b64 exec, s[20:21]                                   // 00000000707C: BEFE0114
	global_atomic_add_f32 v6, v102, s[8:9] offset:8            // 000000007080: DD348008 00086606
	global_atomic_add_f32 v6, v106, s[8:9] offset:264          // 000000007088: DD348108 00086A06
	s_mov_b64 exec, s[36:37]                                   // 000000007090: BEFE0124
	v_mov_b32_e32 v6, v49                                      // 000000007094: 7E0C0331
	s_mov_b64 s[60:61], 0                                      // 000000007098: BEBC0180
	v_readlane_b32 s82, v3, 2                                  // 00000000709C: D2890052 00010503
	s_and_b32 s82, s82, 0xffffff                               // 0000000070A4: 8652FF52 00FFFFFF
	s_cmp_lt_u32 s82, s66                                      // 0000000070AC: BF0A4252
	s_cselect_b32 s20, s36, s60                                // 0000000070B0: 85143C24
	v_readlane_b32 s82, v3, 3                                  // 0000000070B4: D2890052 00010703
	s_and_b32 s82, s82, 0xffffff                               // 0000000070BC: 8652FF52 00FFFFFF
	s_cmp_lt_u32 s82, s66                                      // 0000000070C4: BF0A4252
	s_cselect_b32 s21, s36, s60                                // 0000000070C8: 85153C24
	s_mov_b64 exec, s[20:21]                                   // 0000000070CC: BEFE0114
	global_atomic_add_f32 v6, v103, s[8:9] offset:8            // 0000000070D0: DD348008 00086706
	global_atomic_add_f32 v6, v107, s[8:9] offset:264          // 0000000070D8: DD348108 00086B06
	s_mov_b64 exec, s[36:37]                                   // 0000000070E0: BEFE0124
	v_mov_b32_e32 v6, v50                                      // 0000000070E4: 7E0C0332
	s_mov_b64 s[60:61], 0                                      // 0000000070E8: BEBC0180
	v_readlane_b32 s82, v3, 4                                  // 0000000070EC: D2890052 00010903
	s_and_b32 s82, s82, 0xffffff                               // 0000000070F4: 8652FF52 00FFFFFF
	s_cmp_lt_u32 s82, s66                                      // 0000000070FC: BF0A4252
	s_cselect_b32 s20, s36, s60                                // 000000007100: 85143C24
	v_readlane_b32 s82, v3, 5                                  // 000000007104: D2890052 00010B03
	s_and_b32 s82, s82, 0xffffff                               // 00000000710C: 8652FF52 00FFFFFF
	s_cmp_lt_u32 s82, s66                                      // 000000007114: BF0A4252
	s_cselect_b32 s21, s36, s60                                // 000000007118: 85153C24
	s_mov_b64 exec, s[20:21]                                   // 00000000711C: BEFE0114
	global_atomic_add_f32 v6, v110, s[8:9] offset:8            // 000000007120: DD348008 00086E06
	global_atomic_add_f32 v6, v114, s[8:9] offset:264          // 000000007128: DD348108 00087206
	s_mov_b64 exec, s[36:37]                                   // 000000007130: BEFE0124
	v_mov_b32_e32 v6, v51                                      // 000000007134: 7E0C0333
	s_mov_b64 s[60:61], 0                                      // 000000007138: BEBC0180
	v_readlane_b32 s82, v3, 6                                  // 00000000713C: D2890052 00010D03
	s_and_b32 s82, s82, 0xffffff                               // 000000007144: 8652FF52 00FFFFFF
	s_cmp_lt_u32 s82, s66                                      // 00000000714C: BF0A4252
	s_cselect_b32 s20, s36, s60                                // 000000007150: 85143C24
	v_readlane_b32 s82, v3, 7                                  // 000000007154: D2890052 00010F03
	s_and_b32 s82, s82, 0xffffff                               // 00000000715C: 8652FF52 00FFFFFF
	s_cmp_lt_u32 s82, s66                                      // 000000007164: BF0A4252
	s_cselect_b32 s21, s36, s60                                // 000000007168: 85153C24
	s_mov_b64 exec, s[20:21]                                   // 00000000716C: BEFE0114
	global_atomic_add_f32 v6, v111, s[8:9] offset:8            // 000000007170: DD348008 00086F06
	global_atomic_add_f32 v6, v115, s[8:9] offset:264          // 000000007178: DD348108 00087306
	s_mov_b64 exec, s[36:37]                                   // 000000007180: BEFE0124
	v_mov_b32_e32 v6, v52                                      // 000000007184: 7E0C0334
	s_mov_b64 s[60:61], 0                                      // 000000007188: BEBC0180
	v_readlane_b32 s82, v3, 8                                  // 00000000718C: D2890052 00011103
	s_and_b32 s82, s82, 0xffffff                               // 000000007194: 8652FF52 00FFFFFF
	s_cmp_lt_u32 s82, s66                                      // 00000000719C: BF0A4252
	s_cselect_b32 s20, s36, s60                                // 0000000071A0: 85143C24
	v_readlane_b32 s82, v3, 9                                  // 0000000071A4: D2890052 00011303
	s_and_b32 s82, s82, 0xffffff                               // 0000000071AC: 8652FF52 00FFFFFF
	s_cmp_lt_u32 s82, s66                                      // 0000000071B4: BF0A4252
	s_cselect_b32 s21, s36, s60                                // 0000000071B8: 85153C24
	s_mov_b64 exec, s[20:21]                                   // 0000000071BC: BEFE0114
	global_atomic_add_f32 v6, v118, s[8:9] offset:8            // 0000000071C0: DD348008 00087606
	global_atomic_add_f32 v6, v122, s[8:9] offset:264          // 0000000071C8: DD348108 00087A06
	s_mov_b64 exec, s[36:37]                                   // 0000000071D0: BEFE0124
	v_mov_b32_e32 v6, v53                                      // 0000000071D4: 7E0C0335
	s_mov_b64 s[60:61], 0                                      // 0000000071D8: BEBC0180
	v_readlane_b32 s82, v3, 10                                 // 0000000071DC: D2890052 00011503
	s_and_b32 s82, s82, 0xffffff                               // 0000000071E4: 8652FF52 00FFFFFF
	s_cmp_lt_u32 s82, s66                                      // 0000000071EC: BF0A4252
	s_cselect_b32 s20, s36, s60                                // 0000000071F0: 85143C24
	v_readlane_b32 s82, v3, 11                                 // 0000000071F4: D2890052 00011703
	s_and_b32 s82, s82, 0xffffff                               // 0000000071FC: 8652FF52 00FFFFFF
	s_cmp_lt_u32 s82, s66                                      // 000000007204: BF0A4252
	s_cselect_b32 s21, s36, s60                                // 000000007208: 85153C24
	s_mov_b64 exec, s[20:21]                                   // 00000000720C: BEFE0114
	global_atomic_add_f32 v6, v119, s[8:9] offset:8            // 000000007210: DD348008 00087706
	global_atomic_add_f32 v6, v123, s[8:9] offset:264          // 000000007218: DD348108 00087B06
	s_mov_b64 exec, s[36:37]                                   // 000000007220: BEFE0124
	v_mov_b32_e32 v6, v54                                      // 000000007224: 7E0C0336
	s_mov_b64 s[60:61], 0                                      // 000000007228: BEBC0180
	v_readlane_b32 s82, v3, 12                                 // 00000000722C: D2890052 00011903
	s_and_b32 s82, s82, 0xffffff                               // 000000007234: 8652FF52 00FFFFFF
	s_cmp_lt_u32 s82, s66                                      // 00000000723C: BF0A4252
	s_cselect_b32 s20, s36, s60                                // 000000007240: 85143C24
	v_readlane_b32 s82, v3, 13                                 // 000000007244: D2890052 00011B03
	s_and_b32 s82, s82, 0xffffff                               // 00000000724C: 8652FF52 00FFFFFF
	s_cmp_lt_u32 s82, s66                                      // 000000007254: BF0A4252
	s_cselect_b32 s21, s36, s60                                // 000000007258: 85153C24
	s_mov_b64 exec, s[20:21]                                   // 00000000725C: BEFE0114
	global_atomic_add_f32 v6, v126, s[8:9] offset:8            // 000000007260: DD348008 00087E06
	global_atomic_add_f32 v6, v130, s[8:9] offset:264          // 000000007268: DD348108 00088206
	s_mov_b64 exec, s[36:37]                                   // 000000007270: BEFE0124
	v_mov_b32_e32 v6, v55                                      // 000000007274: 7E0C0337
	s_mov_b64 s[60:61], 0                                      // 000000007278: BEBC0180
	v_readlane_b32 s82, v3, 14                                 // 00000000727C: D2890052 00011D03
	s_and_b32 s82, s82, 0xffffff                               // 000000007284: 8652FF52 00FFFFFF
	s_cmp_lt_u32 s82, s66                                      // 00000000728C: BF0A4252
	s_cselect_b32 s20, s36, s60                                // 000000007290: 85143C24
	v_readlane_b32 s82, v3, 15                                 // 000000007294: D2890052 00011F03
	s_and_b32 s82, s82, 0xffffff                               // 00000000729C: 8652FF52 00FFFFFF
	s_cmp_lt_u32 s82, s66                                      // 0000000072A4: BF0A4252
	s_cselect_b32 s21, s36, s60                                // 0000000072A8: 85153C24
	s_mov_b64 exec, s[20:21]                                   // 0000000072AC: BEFE0114
	global_atomic_add_f32 v6, v127, s[8:9] offset:8            // 0000000072B0: DD348008 00087F06
	global_atomic_add_f32 v6, v131, s[8:9] offset:264          // 0000000072B8: DD348108 00088306
	s_mov_b64 exec, s[36:37]                                   // 0000000072C0: BEFE0124
	v_mov_b32_e32 v6, v56                                      // 0000000072C4: 7E0C0338
	s_mov_b64 s[60:61], 0                                      // 0000000072C8: BEBC0180
	v_readlane_b32 s82, v3, 16                                 // 0000000072CC: D2890052 00012103
	s_and_b32 s82, s82, 0xffffff                               // 0000000072D4: 8652FF52 00FFFFFF
	s_cmp_lt_u32 s82, s66                                      // 0000000072DC: BF0A4252
	s_cselect_b32 s20, s36, s60                                // 0000000072E0: 85143C24
	v_readlane_b32 s82, v3, 17                                 // 0000000072E4: D2890052 00012303
	s_and_b32 s82, s82, 0xffffff                               // 0000000072EC: 8652FF52 00FFFFFF
	s_cmp_lt_u32 s82, s66                                      // 0000000072F4: BF0A4252
	s_cselect_b32 s21, s36, s60                                // 0000000072F8: 85153C24
	s_mov_b64 exec, s[20:21]                                   // 0000000072FC: BEFE0114
	global_atomic_add_f32 v6, v134, s[8:9] offset:8            // 000000007300: DD348008 00088606
	global_atomic_add_f32 v6, v138, s[8:9] offset:264          // 000000007308: DD348108 00088A06
	s_mov_b64 exec, s[36:37]                                   // 000000007310: BEFE0124
	v_mov_b32_e32 v6, v57                                      // 000000007314: 7E0C0339
	s_mov_b64 s[60:61], 0                                      // 000000007318: BEBC0180
	v_readlane_b32 s82, v3, 18                                 // 00000000731C: D2890052 00012503
	s_and_b32 s82, s82, 0xffffff                               // 000000007324: 8652FF52 00FFFFFF
	s_cmp_lt_u32 s82, s66                                      // 00000000732C: BF0A4252
	s_cselect_b32 s20, s36, s60                                // 000000007330: 85143C24
	v_readlane_b32 s82, v3, 19                                 // 000000007334: D2890052 00012703
	s_and_b32 s82, s82, 0xffffff                               // 00000000733C: 8652FF52 00FFFFFF
	s_cmp_lt_u32 s82, s66                                      // 000000007344: BF0A4252
	s_cselect_b32 s21, s36, s60                                // 000000007348: 85153C24
	s_mov_b64 exec, s[20:21]                                   // 00000000734C: BEFE0114
	global_atomic_add_f32 v6, v135, s[8:9] offset:8            // 000000007350: DD348008 00088706
	global_atomic_add_f32 v6, v139, s[8:9] offset:264          // 000000007358: DD348108 00088B06
	s_mov_b64 exec, s[36:37]                                   // 000000007360: BEFE0124
	s_branch label_21F8                                        // 000000007364: BF820F9B

0000000000007368 <label_125D>:
	s_waitcnt vmcnt(2) lgkmcnt(0)                              // 000000007368: BF8C0072
	s_barrier                                                  // 00000000736C: BF8A0000
	v_mov_b32_e32 v43, v33                                     // 000000007370: 7E560321
	v_mov_b32_e32 v44, v34                                     // 000000007374: 7E580322
	v_mov_b32_e32 v45, v35                                     // 000000007378: 7E5A0323
	v_mov_b32_e32 v46, v36                                     // 00000000737C: 7E5C0324
	v_mov_b32_e32 v47, v37                                     // 000000007380: 7E5E0325
	v_mul_f32_dpp v4, v24, v43 row_newbcast:0 row_mask:0xf bank_mask:0xf// 000000007384: 0A0856FA FF015018
	v_mfma_f32_16x16x32_fp8_fp8 v[8:11], a[80:81], a[0:1], 0   // 00000000738C: D3F30008 1A020150
	buffer_load_dword v27, v23, s[32:35], 0 offen              // 000000007394: E0501000 80081B17
	buffer_load_dwordx4 a[96:99], v58, s[84:87], 0 offen       // 00000000739C: E05C1000 8095603A
	v_mfma_f32_16x16x32_fp8_fp8 v[8:11], a[82:83], a[2:3], v[8:11]// 0000000073A4: D3F30008 1C220552
	v_mfma_f32_16x16x32_fp8_fp8 v[8:11], a[84:85], a[4:5], v[8:11]// 0000000073AC: D3F30008 1C220954
	v_mfma_f32_16x16x32_fp8_fp8 v[8:11], a[86:87], a[6:7], v[8:11]// 0000000073B4: D3F30008 1C220D56
	v_mul_f32_dpp v6, v24, v44 row_newbcast:0 row_mask:0xf bank_mask:0xf// 0000000073BC: 0A0C58FA FF015018
	v_mfma_f32_16x16x32_fp8_fp8 v[12:15], a[80:81], a[8:9], 0  // 0000000073C4: D3F3000C 1A021150
	buffer_load_dwordx4 a[100:103], v58, s[84:87], 0 offen offset:1024// 0000000073CC: E05C1400 8095643A
	v_mfma_f32_16x16x32_fp8_fp8 v[12:15], a[82:83], a[10:11], v[12:15]// 0000000073D4: D3F3000C 1C321552
	v_mfma_f32_16x16x32_fp8_fp8 v[12:15], a[84:85], a[12:13], v[12:15]// 0000000073DC: D3F3000C 1C321954
	v_mfma_f32_16x16x32_fp8_fp8 v[12:15], a[86:87], a[14:15], v[12:15]// 0000000073E4: D3F3000C 1C321D56
	v_fma_f32 v60, v8, v4, v60                                 // 0000000073EC: D1CB003C 04F20908
	v_fma_f32 v61, v9, v4, v61                                 // 0000000073F4: D1CB003D 04F60909
	v_fma_f32 v62, v10, v4, v62                                // 0000000073FC: D1CB003E 04FA090A
	v_fma_f32 v63, v11, v4, v63                                // 000000007404: D1CB003F 04FE090B
	v_mul_f32_dpp v4, v24, v45 row_newbcast:0 row_mask:0xf bank_mask:0xf// 00000000740C: 0A085AFA FF015018
	v_mfma_f32_16x16x32_fp8_fp8 v[8:11], a[80:81], a[16:17], 0 // 000000007414: D3F30008 1A022150
	buffer_load_dwordx4 a[104:107], v59, s[84:87], 0 offen     // 00000000741C: E05C1000 8095683B
	v_mfma_f32_16x16x32_fp8_fp8 v[8:11], a[82:83], a[18:19], v[8:11]// 000000007424: D3F30008 1C222552
	v_mfma_f32_16x16x32_fp8_fp8 v[8:11], a[84:85], a[20:21], v[8:11]// 00000000742C: D3F30008 1C222954
	v_mfma_f32_16x16x32_fp8_fp8 v[8:11], a[86:87], a[22:23], v[8:11]// 000000007434: D3F30008 1C222D56
	v_fma_f32 v64, v12, v6, v64                                // 00000000743C: D1CB0040 05020D0C
	v_fma_f32 v65, v13, v6, v65                                // 000000007444: D1CB0041 05060D0D
	v_fma_f32 v66, v14, v6, v66                                // 00000000744C: D1CB0042 050A0D0E
	v_fma_f32 v67, v15, v6, v67                                // 000000007454: D1CB0043 050E0D0F
	v_mul_f32_dpp v6, v24, v46 row_newbcast:0 row_mask:0xf bank_mask:0xf// 00000000745C: 0A0C5CFA FF015018
	v_mfma_f32_16x16x32_fp8_fp8 v[12:15], a[80:81], a[24:25], 0// 000000007464: D3F3000C 1A023150
	buffer_load_dwordx4 a[108:111], v59, s[84:87], 0 offen offset:1024// 00000000746C: E05C1400 80956C3B
	buffer_load_dword v48, s[20:23], 0 offen lds               // 000000007474: E0511000 80050030
	s_add_u32 m0, 0x100, s48                                   // 00000000747C: 807C30FF 00000100
	v_mfma_f32_16x16x32_fp8_fp8 v[12:15], a[82:83], a[26:27], v[12:15]// 000000007484: D3F3000C 1C323552
	v_mfma_f32_16x16x32_fp8_fp8 v[12:15], a[84:85], a[28:29], v[12:15]// 00000000748C: D3F3000C 1C323954
	buffer_load_dword v49, s[20:23], 0 offen lds               // 000000007494: E0511000 80050031
	s_add_u32 m0, 0x200, s48                                   // 00000000749C: 807C30FF 00000200
	v_mfma_f32_16x16x32_fp8_fp8 v[12:15], a[86:87], a[30:31], v[12:15]// 0000000074A4: D3F3000C 1C323D56
	v_fma_f32 v68, v8, v4, v68                                 // 0000000074AC: D1CB0044 05120908
	v_fma_f32 v69, v9, v4, v69                                 // 0000000074B4: D1CB0045 05160909
	v_fma_f32 v70, v10, v4, v70                                // 0000000074BC: D1CB0046 051A090A
	v_fma_f32 v71, v11, v4, v71                                // 0000000074C4: D1CB0047 051E090B
	v_mul_f32_dpp v4, v24, v47 row_newbcast:0 row_mask:0xf bank_mask:0xf// 0000000074CC: 0A085EFA FF015018
	v_mfma_f32_16x16x32_fp8_fp8 v[8:11], a[80:81], a[32:33], 0 // 0000000074D4: D3F30008 1A024150
	buffer_load_dword v50, s[20:23], 0 offen lds               // 0000000074DC: E0511000 80050032
	s_add_u32 m0, 0x300, s48                                   // 0000000074E4: 807C30FF 00000300
	v_mfma_f32_16x16x32_fp8_fp8 v[8:11], a[82:83], a[34:35], v[8:11]// 0000000074EC: D3F30008 1C224552
	v_mfma_f32_16x16x32_fp8_fp8 v[8:11], a[84:85], a[36:37], v[8:11]// 0000000074F4: D3F30008 1C224954
	buffer_load_dword v51, s[20:23], 0 offen lds               // 0000000074FC: E0511000 80050033
	s_add_u32 m0, 0x400, s48                                   // 000000007504: 807C30FF 00000400
	v_mfma_f32_16x16x32_fp8_fp8 v[8:11], a[86:87], a[38:39], v[8:11]// 00000000750C: D3F30008 1C224D56
	v_fma_f32 v72, v12, v6, v72                                // 000000007514: D1CB0048 05220D0C
	v_fma_f32 v73, v13, v6, v73                                // 00000000751C: D1CB0049 05260D0D
	v_fma_f32 v74, v14, v6, v74                                // 000000007524: D1CB004A 052A0D0E
	v_fma_f32 v75, v15, v6, v75                                // 00000000752C: D1CB004B 052E0D0F
	s_waitcnt vmcnt(9)                                         // 000000007534: BF8C0F79
	v_mul_f32_dpp v6, v24, v43 row_newbcast:0 row_mask:0xf bank_mask:0xf// 000000007538: 0A0C56FA FF015018
	v_mfma_f32_16x16x32_fp8_fp8 v[12:15], a[88:89], a[0:1], 0  // 000000007540: D3F3000C 1A020158
	buffer_load_dword v52, s[20:23], 0 offen lds               // 000000007548: E0511000 80050034
	s_add_u32 m0, 0x500, s48                                   // 000000007550: 807C30FF 00000500
	v_mfma_f32_16x16x32_fp8_fp8 v[12:15], a[90:91], a[2:3], v[12:15]// 000000007558: D3F3000C 1C32055A
	v_mfma_f32_16x16x32_fp8_fp8 v[12:15], a[92:93], a[4:5], v[12:15]// 000000007560: D3F3000C 1C32095C
	buffer_load_dword v53, s[20:23], 0 offen lds               // 000000007568: E0511000 80050035
	s_add_u32 m0, 0x600, s48                                   // 000000007570: 807C30FF 00000600
	v_mfma_f32_16x16x32_fp8_fp8 v[12:15], a[94:95], a[6:7], v[12:15]// 000000007578: D3F3000C 1C320D5E
	v_fma_f32 v76, v8, v4, v76                                 // 000000007580: D1CB004C 05320908
	v_fma_f32 v77, v9, v4, v77                                 // 000000007588: D1CB004D 05360909
	v_fma_f32 v78, v10, v4, v78                                // 000000007590: D1CB004E 053A090A
	v_fma_f32 v79, v11, v4, v79                                // 000000007598: D1CB004F 053E090B
	v_mul_f32_dpp v4, v24, v44 row_newbcast:0 row_mask:0xf bank_mask:0xf// 0000000075A0: 0A0858FA FF015018
	v_mfma_f32_16x16x32_fp8_fp8 v[8:11], a[88:89], a[8:9], 0   // 0000000075A8: D3F30008 1A021158
	buffer_load_dword v54, s[20:23], 0 offen lds               // 0000000075B0: E0511000 80050036
	s_add_u32 m0, 0x700, s48                                   // 0000000075B8: 807C30FF 00000700
	v_mfma_f32_16x16x32_fp8_fp8 v[8:11], a[90:91], a[10:11], v[8:11]// 0000000075C0: D3F30008 1C22155A
	v_mfma_f32_16x16x32_fp8_fp8 v[8:11], a[92:93], a[12:13], v[8:11]// 0000000075C8: D3F30008 1C22195C
	buffer_load_dword v55, s[20:23], 0 offen lds               // 0000000075D0: E0511000 80050037
	s_add_u32 m0, 0x800, s48                                   // 0000000075D8: 807C30FF 00000800
	v_mfma_f32_16x16x32_fp8_fp8 v[8:11], a[94:95], a[14:15], v[8:11]// 0000000075E0: D3F30008 1C221D5E
	v_fma_f32 v80, v12, v6, v80                                // 0000000075E8: D1CB0050 05420D0C
	v_fma_f32 v81, v13, v6, v81                                // 0000000075F0: D1CB0051 05460D0D
	v_fma_f32 v82, v14, v6, v82                                // 0000000075F8: D1CB0052 054A0D0E
	v_fma_f32 v83, v15, v6, v83                                // 000000007600: D1CB0053 054E0D0F
	v_mul_f32_dpp v6, v24, v45 row_newbcast:0 row_mask:0xf bank_mask:0xf// 000000007608: 0A0C5AFA FF015018
	v_mfma_f32_16x16x32_fp8_fp8 v[12:15], a[88:89], a[16:17], 0// 000000007610: D3F3000C 1A022158
	buffer_load_dword v56, s[20:23], 0 offen lds               // 000000007618: E0511000 80050038
	s_add_u32 m0, 0x900, s48                                   // 000000007620: 807C30FF 00000900
	v_mfma_f32_16x16x32_fp8_fp8 v[12:15], a[90:91], a[18:19], v[12:15]// 000000007628: D3F3000C 1C32255A
	v_mfma_f32_16x16x32_fp8_fp8 v[12:15], a[92:93], a[20:21], v[12:15]// 000000007630: D3F3000C 1C32295C
	buffer_load_dword v57, s[20:23], 0 offen lds               // 000000007638: E0511000 80050039
	s_add_u32 m0, 0, s49                                       // 000000007640: 807C3180
	v_mfma_f32_16x16x32_fp8_fp8 v[12:15], a[94:95], a[22:23], v[12:15]// 000000007644: D3F3000C 1C322D5E
	v_fma_f32 v84, v8, v4, v84                                 // 00000000764C: D1CB0054 05520908
	v_fma_f32 v85, v9, v4, v85                                 // 000000007654: D1CB0055 05560909
	v_fma_f32 v86, v10, v4, v86                                // 00000000765C: D1CB0056 055A090A
	v_fma_f32 v87, v11, v4, v87                                // 000000007664: D1CB0057 055E090B
	v_mul_f32_dpp v4, v24, v46 row_newbcast:0 row_mask:0xf bank_mask:0xf// 00000000766C: 0A085CFA FF015018
	v_mfma_f32_16x16x32_fp8_fp8 v[8:11], a[88:89], a[24:25], 0 // 000000007674: D3F30008 1A023158
	buffer_load_dword v33, v28, s[28:31], 0 offen              // 00000000767C: E0501000 8007211C
	v_mfma_f32_16x16x32_fp8_fp8 v[8:11], a[90:91], a[26:27], v[8:11]// 000000007684: D3F30008 1C22355A
	v_mfma_f32_16x16x32_fp8_fp8 v[8:11], a[92:93], a[28:29], v[8:11]// 00000000768C: D3F30008 1C22395C
	buffer_load_dword v34, v29, s[28:31], 0 offen              // 000000007694: E0501000 8007221D
	v_mfma_f32_16x16x32_fp8_fp8 v[8:11], a[94:95], a[30:31], v[8:11]// 00000000769C: D3F30008 1C223D5E
	v_fma_f32 v88, v12, v6, v88                                // 0000000076A4: D1CB0058 05620D0C
	v_fma_f32 v89, v13, v6, v89                                // 0000000076AC: D1CB0059 05660D0D
	v_fma_f32 v90, v14, v6, v90                                // 0000000076B4: D1CB005A 056A0D0E
	v_fma_f32 v91, v15, v6, v91                                // 0000000076BC: D1CB005B 056E0D0F
	v_mul_f32_dpp v6, v24, v47 row_newbcast:0 row_mask:0xf bank_mask:0xf// 0000000076C4: 0A0C5EFA FF015018
	v_mfma_f32_16x16x32_fp8_fp8 v[12:15], a[88:89], a[32:33], 0// 0000000076CC: D3F3000C 1A024158
	buffer_load_dword v35, v30, s[28:31], 0 offen              // 0000000076D4: E0501000 8007231E
	v_mfma_f32_16x16x32_fp8_fp8 v[12:15], a[90:91], a[34:35], v[12:15]// 0000000076DC: D3F3000C 1C32455A
	s_add_u32 s60, 0x80, s80                                   // 0000000076E4: 803C50FF 00000080
	s_cmp_lt_u32 s60, s81                                      // 0000000076EC: BF0A513C
	s_cselect_b32 s83, s83, 0                                  // 0000000076F0: 85538053
	s_cselect_b32 s4, s4, 0                                    // 0000000076F4: 85048004
	v_mfma_f32_16x16x32_fp8_fp8 v[12:15], a[92:93], a[36:37], v[12:15]// 0000000076F8: D3F3000C 1C32495C
	buffer_load_dword v36, v31, s[28:31], 0 offen              // 000000007700: E0501000 8007241F
	s_add_u32 s32, s4, s32                                     // 000000007708: 80202004
	s_addc_u32 s33, 0, s33                                     // 00000000770C: 82212180
	v_mfma_f32_16x16x32_fp8_fp8 v[12:15], a[94:95], a[38:39], v[12:15]// 000000007710: D3F3000C 1C324D5E
	v_fma_f32 v92, v8, v4, v92                                 // 000000007718: D1CB005C 05720908
	v_fma_f32 v93, v9, v4, v93                                 // 000000007720: D1CB005D 05760909
	v_fma_f32 v94, v10, v4, v94                                // 000000007728: D1CB005E 057A090A
	v_fma_f32 v95, v11, v4, v95                                // 000000007730: D1CB005F 057E090B
	v_fma_f32 v96, v12, v6, v96                                // 000000007738: D1CB0060 05820D0C
	v_fma_f32 v97, v13, v6, v97                                // 000000007740: D1CB0061 05860D0D
	v_fma_f32 v98, v14, v6, v98                                // 000000007748: D1CB0062 058A0D0E
	v_fma_f32 v99, v15, v6, v99                                // 000000007750: D1CB0063 058E0D0F
	buffer_load_dword v37, v32, s[28:31], 0 offen              // 000000007758: E0501000 80072520
	s_waitcnt vmcnt(15)                                        // 000000007760: BF8C0F7F
	v_mul_f32_dpp v4, v27, v43 row_newbcast:0 row_mask:0xf bank_mask:0xf// 000000007764: 0A0856FA FF01501B
	v_mfma_f32_16x16x32_fp8_fp8 v[8:11], a[96:97], a[0:1], 0   // 00000000776C: D3F30008 1A020160
	buffer_load_dword v24, v22, s[32:35], 0 offen              // 000000007774: E0501000 80081816
	buffer_load_dwordx4 a[80:83], v58, s[24:27], 0 offen       // 00000000777C: E05C1000 8086503A
	v_mfma_f32_16x16x32_fp8_fp8 v[8:11], a[98:99], a[2:3], v[8:11]// 000000007784: D3F30008 1C220562
	v_mfma_f32_16x16x32_fp8_fp8 v[8:11], a[100:101], a[4:5], v[8:11]// 00000000778C: D3F30008 1C220964
	ds_read_b128 a[40:43], v2 offset:10368                     // 000000007794: DBFE2880 28000002
	ds_read_b128 a[44:47], v2 offset:10432                     // 00000000779C: DBFE28C0 2C000002
	v_mfma_f32_16x16x32_fp8_fp8 v[8:11], a[102:103], a[6:7], v[8:11]// 0000000077A4: D3F30008 1C220D66
	v_mfma_f32_16x16x32_fp8_fp8 v[12:15], a[104:105], a[0:1], 0// 0000000077AC: D3F3000C 1A020168
	buffer_load_dwordx4 a[84:87], v58, s[24:27], 0 offen offset:1024// 0000000077B4: E05C1400 8086543A
	v_mfma_f32_16x16x32_fp8_fp8 v[12:15], a[106:107], a[2:3], v[12:15]// 0000000077BC: D3F3000C 1C32056A
	v_mfma_f32_16x16x32_fp8_fp8 v[12:15], a[108:109], a[4:5], v[12:15]// 0000000077C4: D3F3000C 1C32096C
	ds_read_b128 a[48:51], v2 offset:10880                     // 0000000077CC: DBFE2A80 30000002
	ds_read_b128 a[52:55], v2 offset:10944                     // 0000000077D4: DBFE2AC0 34000002
	v_mfma_f32_16x16x32_fp8_fp8 v[12:15], a[110:111], a[6:7], v[12:15]// 0000000077DC: D3F3000C 1C320D6E
	v_fma_f32 v100, v8, v4, v100                               // 0000000077E4: D1CB0064 05920908
	v_fma_f32 v101, v9, v4, v101                               // 0000000077EC: D1CB0065 05960909
	v_fma_f32 v102, v10, v4, v102                              // 0000000077F4: D1CB0066 059A090A
	v_fma_f32 v103, v11, v4, v103                              // 0000000077FC: D1CB0067 059E090B
	v_mul_f32_dpp v6, v27, v44 row_newbcast:0 row_mask:0xf bank_mask:0xf// 000000007804: 0A0C58FA FF01501B
	v_mfma_f32_16x16x32_fp8_fp8 v[8:11], a[96:97], a[8:9], 0   // 00000000780C: D3F30008 1A021160
	buffer_load_dwordx4 a[88:91], v59, s[24:27], 0 offen       // 000000007814: E05C1000 8086583B
	v_mfma_f32_16x16x32_fp8_fp8 v[8:11], a[98:99], a[10:11], v[8:11]// 00000000781C: D3F30008 1C221562
	v_mfma_f32_16x16x32_fp8_fp8 v[8:11], a[100:101], a[12:13], v[8:11]// 000000007824: D3F30008 1C221964
	ds_read_b128 a[56:59], v2 offset:11392                     // 00000000782C: DBFE2C80 38000002
	ds_read_b128 a[60:63], v2 offset:11456                     // 000000007834: DBFE2CC0 3C000002
	v_mfma_f32_16x16x32_fp8_fp8 v[8:11], a[102:103], a[14:15], v[8:11]// 00000000783C: D3F30008 1C221D66
	v_fma_f32 v120, v12, v4, v120                              // 000000007844: D1CB0078 05E2090C
	v_fma_f32 v121, v13, v4, v121                              // 00000000784C: D1CB0079 05E6090D
	v_fma_f32 v122, v14, v4, v122                              // 000000007854: D1CB007A 05EA090E
	v_fma_f32 v123, v15, v4, v123                              // 00000000785C: D1CB007B 05EE090F
	v_mfma_f32_16x16x32_fp8_fp8 v[12:15], a[104:105], a[8:9], 0// 000000007864: D3F3000C 1A021168
	buffer_load_dwordx4 a[92:95], v59, s[24:27], 0 offen offset:1024// 00000000786C: E05C1400 80865C3B
	v_mfma_f32_16x16x32_fp8_fp8 v[12:15], a[106:107], a[10:11], v[12:15]// 000000007874: D3F3000C 1C32156A
	v_mfma_f32_16x16x32_fp8_fp8 v[12:15], a[108:109], a[12:13], v[12:15]// 00000000787C: D3F3000C 1C32196C
	ds_read_b128 a[64:67], v2 offset:11904                     // 000000007884: DBFE2E80 40000002
	ds_read_b128 a[68:71], v2 offset:11968                     // 00000000788C: DBFE2EC0 44000002
	v_mfma_f32_16x16x32_fp8_fp8 v[12:15], a[110:111], a[14:15], v[12:15]// 000000007894: D3F3000C 1C321D6E
	v_fma_f32 v104, v8, v6, v104                               // 00000000789C: D1CB0068 05A20D08
	v_fma_f32 v105, v9, v6, v105                               // 0000000078A4: D1CB0069 05A60D09
	v_fma_f32 v106, v10, v6, v106                              // 0000000078AC: D1CB006A 05AA0D0A
	v_fma_f32 v107, v11, v6, v107                              // 0000000078B4: D1CB006B 05AE0D0B
	v_mul_f32_dpp v4, v27, v45 row_newbcast:0 row_mask:0xf bank_mask:0xf// 0000000078BC: 0A085AFA FF01501B
	v_mfma_f32_16x16x32_fp8_fp8 v[8:11], a[96:97], a[16:17], 0 // 0000000078C4: D3F30008 1A022160
	v_mfma_f32_16x16x32_fp8_fp8 v[8:11], a[98:99], a[18:19], v[8:11]// 0000000078CC: D3F30008 1C222562
	v_mfma_f32_16x16x32_fp8_fp8 v[8:11], a[100:101], a[20:21], v[8:11]// 0000000078D4: D3F30008 1C222964
	ds_read_b128 a[72:75], v2 offset:12416                     // 0000000078DC: DBFE3080 48000002
	ds_read_b128 a[76:79], v2 offset:12480                     // 0000000078E4: DBFE30C0 4C000002
	v_mfma_f32_16x16x32_fp8_fp8 v[8:11], a[102:103], a[22:23], v[8:11]// 0000000078EC: D3F30008 1C222D66
	v_fma_f32 v124, v12, v6, v124                              // 0000000078F4: D1CB007C 05F20D0C
	v_fma_f32 v125, v13, v6, v125                              // 0000000078FC: D1CB007D 05F60D0D
	v_fma_f32 v126, v14, v6, v126                              // 000000007904: D1CB007E 05FA0D0E
	v_fma_f32 v127, v15, v6, v127                              // 00000000790C: D1CB007F 05FE0D0F
	v_mfma_f32_16x16x32_fp8_fp8 v[12:15], a[104:105], a[16:17], 0// 000000007914: D3F3000C 1A022168
	v_mfma_f32_16x16x32_fp8_fp8 v[12:15], a[106:107], a[18:19], v[12:15]// 00000000791C: D3F3000C 1C32256A
	v_mfma_f32_16x16x32_fp8_fp8 v[12:15], a[108:109], a[20:21], v[12:15]// 000000007924: D3F3000C 1C32296C
	v_mfma_f32_16x16x32_fp8_fp8 v[12:15], a[110:111], a[22:23], v[12:15]// 00000000792C: D3F3000C 1C322D6E
	v_fma_f32 v108, v8, v4, v108                               // 000000007934: D1CB006C 05B20908
	v_fma_f32 v109, v9, v4, v109                               // 00000000793C: D1CB006D 05B60909
	v_fma_f32 v110, v10, v4, v110                              // 000000007944: D1CB006E 05BA090A
	v_fma_f32 v111, v11, v4, v111                              // 00000000794C: D1CB006F 05BE090B
	v_mul_f32_dpp v6, v27, v46 row_newbcast:0 row_mask:0xf bank_mask:0xf// 000000007954: 0A0C5CFA FF01501B
	v_mfma_f32_16x16x32_fp8_fp8 v[8:11], a[96:97], a[24:25], 0 // 00000000795C: D3F30008 1A023160
	v_mfma_f32_16x16x32_fp8_fp8 v[8:11], a[98:99], a[26:27], v[8:11]// 000000007964: D3F30008 1C223562
	v_mfma_f32_16x16x32_fp8_fp8 v[8:11], a[100:101], a[28:29], v[8:11]// 00000000796C: D3F30008 1C223964
	v_mfma_f32_16x16x32_fp8_fp8 v[8:11], a[102:103], a[30:31], v[8:11]// 000000007974: D3F30008 1C223D66
	v_fma_f32 v128, v12, v4, v128                              // 00000000797C: D1CB0080 0602090C
	v_fma_f32 v129, v13, v4, v129                              // 000000007984: D1CB0081 0606090D
	v_fma_f32 v130, v14, v4, v130                              // 00000000798C: D1CB0082 060A090E
	v_fma_f32 v131, v15, v4, v131                              // 000000007994: D1CB0083 060E090F
	v_mfma_f32_16x16x32_fp8_fp8 v[12:15], a[104:105], a[24:25], 0// 00000000799C: D3F3000C 1A023168
	v_mfma_f32_16x16x32_fp8_fp8 v[12:15], a[106:107], a[26:27], v[12:15]// 0000000079A4: D3F3000C 1C32356A
	v_mfma_f32_16x16x32_fp8_fp8 v[12:15], a[108:109], a[28:29], v[12:15]// 0000000079AC: D3F3000C 1C32396C
	v_mfma_f32_16x16x32_fp8_fp8 v[12:15], a[110:111], a[30:31], v[12:15]// 0000000079B4: D3F3000C 1C323D6E
	v_fma_f32 v112, v8, v6, v112                               // 0000000079BC: D1CB0070 05C20D08
	v_fma_f32 v113, v9, v6, v113                               // 0000000079C4: D1CB0071 05C60D09
	v_fma_f32 v114, v10, v6, v114                              // 0000000079CC: D1CB0072 05CA0D0A
	v_fma_f32 v115, v11, v6, v115                              // 0000000079D4: D1CB0073 05CE0D0B
	v_mul_f32_dpp v4, v27, v47 row_newbcast:0 row_mask:0xf bank_mask:0xf// 0000000079DC: 0A085EFA FF01501B
	v_mfma_f32_16x16x32_fp8_fp8 v[8:11], a[96:97], a[32:33], 0 // 0000000079E4: D3F30008 1A024160
	v_mfma_f32_16x16x32_fp8_fp8 v[8:11], a[98:99], a[34:35], v[8:11]// 0000000079EC: D3F30008 1C224562
	v_mfma_f32_16x16x32_fp8_fp8 v[8:11], a[100:101], a[36:37], v[8:11]// 0000000079F4: D3F30008 1C224964
	s_add_u32 s60, 0x180, s80                                  // 0000000079FC: 803C50FF 00000180
	s_cmp_lt_u32 s60, s81                                      // 000000007A04: BF0A513C
	s_cselect_b32 s57, s57, 0                                  // 000000007A08: 85398039
	s_cselect_b32 s3, s3, 0                                    // 000000007A0C: 85038003
	v_mfma_f32_16x16x32_fp8_fp8 v[8:11], a[102:103], a[38:39], v[8:11]// 000000007A10: D3F30008 1C224D66
	s_add_u32 s60, 0x100, s80                                  // 000000007A18: 803C50FF 00000100
	s_cmp_lt_u32 s60, s81                                      // 000000007A20: BF0A513C
	s_cselect_b32 s58, s58, 0                                  // 000000007A24: 853A803A
	v_fma_f32 v132, v12, v6, v132                              // 000000007A28: D1CB0084 06120D0C
	v_fma_f32 v133, v13, v6, v133                              // 000000007A30: D1CB0085 06160D0D
	v_fma_f32 v134, v14, v6, v134                              // 000000007A38: D1CB0086 061A0D0E
	v_fma_f32 v135, v15, v6, v135                              // 000000007A40: D1CB0087 061E0D0F
	v_mfma_f32_16x16x32_fp8_fp8 v[12:15], a[104:105], a[32:33], 0// 000000007A48: D3F3000C 1A024168
	s_add_u32 s24, s58, s24                                    // 000000007A50: 8018183A
	s_addc_u32 s25, 0, s25                                     // 000000007A54: 82191980
	v_mfma_f32_16x16x32_fp8_fp8 v[12:15], a[106:107], a[34:35], v[12:15]// 000000007A58: D3F3000C 1C32456A
	s_add_u32 s20, s57, s20                                    // 000000007A60: 80141439
	s_addc_u32 s21, 0, s21                                     // 000000007A64: 82151580
	s_add_u32 s28, s3, s28                                     // 000000007A68: 801C1C03
	s_addc_u32 s29, 0, s29                                     // 000000007A6C: 821D1D80
	v_mfma_f32_16x16x32_fp8_fp8 v[12:15], a[108:109], a[36:37], v[12:15]// 000000007A70: D3F3000C 1C32496C
	s_add_u32 s84, s83, s84                                    // 000000007A78: 80545453
	s_addc_u32 s85, 0, s85                                     // 000000007A7C: 82555580
	v_mfma_f32_16x16x32_fp8_fp8 v[12:15], a[110:111], a[38:39], v[12:15]// 000000007A80: D3F3000C 1C324D6E
	v_fma_f32 v116, v8, v4, v116                               // 000000007A88: D1CB0074 05D20908
	v_fma_f32 v117, v9, v4, v117                               // 000000007A90: D1CB0075 05D60909
	v_fma_f32 v118, v10, v4, v118                              // 000000007A98: D1CB0076 05DA090A
	v_fma_f32 v119, v11, v4, v119                              // 000000007AA0: D1CB0077 05DE090B
	v_fma_f32 v136, v12, v4, v136                              // 000000007AA8: D1CB0088 0622090C
	v_fma_f32 v137, v13, v4, v137                              // 000000007AB0: D1CB0089 0626090D
	v_fma_f32 v138, v14, v4, v138                              // 000000007AB8: D1CB008A 062A090E
	v_fma_f32 v139, v15, v4, v139                              // 000000007AC0: D1CB008B 062E090F
	s_addk_i32 s80, 0x80                                       // 000000007AC8: B7500080
	s_cmp_lt_i32 s80, s81                                      // 000000007ACC: BF045150
	s_cbranch_scc0 label_1614                                  // 000000007AD0: BF8401DC
	s_waitcnt vmcnt(2) lgkmcnt(0)                              // 000000007AD4: BF8C0072
	s_barrier                                                  // 000000007AD8: BF8A0000
	v_mov_b32_e32 v43, v38                                     // 000000007ADC: 7E560326
	v_mov_b32_e32 v44, v39                                     // 000000007AE0: 7E580327
	v_mov_b32_e32 v45, v40                                     // 000000007AE4: 7E5A0328
	v_mov_b32_e32 v46, v41                                     // 000000007AE8: 7E5C0329
	v_mov_b32_e32 v47, v42                                     // 000000007AEC: 7E5E032A
	v_mul_f32_dpp v4, v24, v43 row_newbcast:0 row_mask:0xf bank_mask:0xf// 000000007AF0: 0A0856FA FF015018
	v_mfma_f32_16x16x32_fp8_fp8 v[8:11], a[80:81], a[40:41], 0 // 000000007AF8: D3F30008 1A025150
	buffer_load_dword v27, v23, s[32:35], 0 offen              // 000000007B00: E0501000 80081B17
	buffer_load_dwordx4 a[96:99], v58, s[84:87], 0 offen       // 000000007B08: E05C1000 8095603A
	v_mfma_f32_16x16x32_fp8_fp8 v[8:11], a[82:83], a[42:43], v[8:11]// 000000007B10: D3F30008 1C225552
	v_mfma_f32_16x16x32_fp8_fp8 v[8:11], a[84:85], a[44:45], v[8:11]// 000000007B18: D3F30008 1C225954
	v_mfma_f32_16x16x32_fp8_fp8 v[8:11], a[86:87], a[46:47], v[8:11]// 000000007B20: D3F30008 1C225D56
	v_mul_f32_dpp v6, v24, v44 row_newbcast:0 row_mask:0xf bank_mask:0xf// 000000007B28: 0A0C58FA FF015018
	v_mfma_f32_16x16x32_fp8_fp8 v[12:15], a[80:81], a[48:49], 0// 000000007B30: D3F3000C 1A026150
	buffer_load_dwordx4 a[100:103], v58, s[84:87], 0 offen offset:1024// 000000007B38: E05C1400 8095643A
	v_mfma_f32_16x16x32_fp8_fp8 v[12:15], a[82:83], a[50:51], v[12:15]// 000000007B40: D3F3000C 1C326552
	v_mfma_f32_16x16x32_fp8_fp8 v[12:15], a[84:85], a[52:53], v[12:15]// 000000007B48: D3F3000C 1C326954
	v_mfma_f32_16x16x32_fp8_fp8 v[12:15], a[86:87], a[54:55], v[12:15]// 000000007B50: D3F3000C 1C326D56
	v_fma_f32 v60, v8, v4, v60                                 // 000000007B58: D1CB003C 04F20908
	v_fma_f32 v61, v9, v4, v61                                 // 000000007B60: D1CB003D 04F60909
	v_fma_f32 v62, v10, v4, v62                                // 000000007B68: D1CB003E 04FA090A
	v_fma_f32 v63, v11, v4, v63                                // 000000007B70: D1CB003F 04FE090B
	v_mul_f32_dpp v4, v24, v45 row_newbcast:0 row_mask:0xf bank_mask:0xf// 000000007B78: 0A085AFA FF015018
	v_mfma_f32_16x16x32_fp8_fp8 v[8:11], a[80:81], a[56:57], 0 // 000000007B80: D3F30008 1A027150
	buffer_load_dwordx4 a[104:107], v59, s[84:87], 0 offen     // 000000007B88: E05C1000 8095683B
	v_mfma_f32_16x16x32_fp8_fp8 v[8:11], a[82:83], a[58:59], v[8:11]// 000000007B90: D3F30008 1C227552
	v_mfma_f32_16x16x32_fp8_fp8 v[8:11], a[84:85], a[60:61], v[8:11]// 000000007B98: D3F30008 1C227954
	v_mfma_f32_16x16x32_fp8_fp8 v[8:11], a[86:87], a[62:63], v[8:11]// 000000007BA0: D3F30008 1C227D56
	v_fma_f32 v64, v12, v6, v64                                // 000000007BA8: D1CB0040 05020D0C
	v_fma_f32 v65, v13, v6, v65                                // 000000007BB0: D1CB0041 05060D0D
	v_fma_f32 v66, v14, v6, v66                                // 000000007BB8: D1CB0042 050A0D0E
	v_fma_f32 v67, v15, v6, v67                                // 000000007BC0: D1CB0043 050E0D0F
	v_mul_f32_dpp v6, v24, v46 row_newbcast:0 row_mask:0xf bank_mask:0xf// 000000007BC8: 0A0C5CFA FF015018
	v_mfma_f32_16x16x32_fp8_fp8 v[12:15], a[80:81], a[64:65], 0// 000000007BD0: D3F3000C 1A028150
	buffer_load_dwordx4 a[108:111], v59, s[84:87], 0 offen offset:1024// 000000007BD8: E05C1400 80956C3B
	buffer_load_dword v48, s[20:23], 0 offen lds               // 000000007BE0: E0511000 80050030
	s_add_u32 m0, 0x100, s49                                   // 000000007BE8: 807C31FF 00000100
	v_mfma_f32_16x16x32_fp8_fp8 v[12:15], a[82:83], a[66:67], v[12:15]// 000000007BF0: D3F3000C 1C328552
	v_mfma_f32_16x16x32_fp8_fp8 v[12:15], a[84:85], a[68:69], v[12:15]// 000000007BF8: D3F3000C 1C328954
	buffer_load_dword v49, s[20:23], 0 offen lds               // 000000007C00: E0511000 80050031
	s_add_u32 m0, 0x200, s49                                   // 000000007C08: 807C31FF 00000200
	v_mfma_f32_16x16x32_fp8_fp8 v[12:15], a[86:87], a[70:71], v[12:15]// 000000007C10: D3F3000C 1C328D56
	v_fma_f32 v68, v8, v4, v68                                 // 000000007C18: D1CB0044 05120908
	v_fma_f32 v69, v9, v4, v69                                 // 000000007C20: D1CB0045 05160909
	v_fma_f32 v70, v10, v4, v70                                // 000000007C28: D1CB0046 051A090A
	v_fma_f32 v71, v11, v4, v71                                // 000000007C30: D1CB0047 051E090B
	v_mul_f32_dpp v4, v24, v47 row_newbcast:0 row_mask:0xf bank_mask:0xf// 000000007C38: 0A085EFA FF015018
	v_mfma_f32_16x16x32_fp8_fp8 v[8:11], a[80:81], a[72:73], 0 // 000000007C40: D3F30008 1A029150
	buffer_load_dword v50, s[20:23], 0 offen lds               // 000000007C48: E0511000 80050032
	s_add_u32 m0, 0x300, s49                                   // 000000007C50: 807C31FF 00000300
	v_mfma_f32_16x16x32_fp8_fp8 v[8:11], a[82:83], a[74:75], v[8:11]// 000000007C58: D3F30008 1C229552
	v_mfma_f32_16x16x32_fp8_fp8 v[8:11], a[84:85], a[76:77], v[8:11]// 000000007C60: D3F30008 1C229954
	buffer_load_dword v51, s[20:23], 0 offen lds               // 000000007C68: E0511000 80050033
	s_add_u32 m0, 0x400, s49                                   // 000000007C70: 807C31FF 00000400
	v_mfma_f32_16x16x32_fp8_fp8 v[8:11], a[86:87], a[78:79], v[8:11]// 000000007C78: D3F30008 1C229D56
	v_fma_f32 v72, v12, v6, v72                                // 000000007C80: D1CB0048 05220D0C
	v_fma_f32 v73, v13, v6, v73                                // 000000007C88: D1CB0049 05260D0D
	v_fma_f32 v74, v14, v6, v74                                // 000000007C90: D1CB004A 052A0D0E
	v_fma_f32 v75, v15, v6, v75                                // 000000007C98: D1CB004B 052E0D0F
	s_waitcnt vmcnt(9)                                         // 000000007CA0: BF8C0F79
	v_mul_f32_dpp v6, v24, v43 row_newbcast:0 row_mask:0xf bank_mask:0xf// 000000007CA4: 0A0C56FA FF015018
	v_mfma_f32_16x16x32_fp8_fp8 v[12:15], a[88:89], a[40:41], 0// 000000007CAC: D3F3000C 1A025158
	buffer_load_dword v52, s[20:23], 0 offen lds               // 000000007CB4: E0511000 80050034
	s_add_u32 m0, 0x500, s49                                   // 000000007CBC: 807C31FF 00000500
	v_mfma_f32_16x16x32_fp8_fp8 v[12:15], a[90:91], a[42:43], v[12:15]// 000000007CC4: D3F3000C 1C32555A
	v_mfma_f32_16x16x32_fp8_fp8 v[12:15], a[92:93], a[44:45], v[12:15]// 000000007CCC: D3F3000C 1C32595C
	buffer_load_dword v53, s[20:23], 0 offen lds               // 000000007CD4: E0511000 80050035
	s_add_u32 m0, 0x600, s49                                   // 000000007CDC: 807C31FF 00000600
	v_mfma_f32_16x16x32_fp8_fp8 v[12:15], a[94:95], a[46:47], v[12:15]// 000000007CE4: D3F3000C 1C325D5E
	v_fma_f32 v76, v8, v4, v76                                 // 000000007CEC: D1CB004C 05320908
	v_fma_f32 v77, v9, v4, v77                                 // 000000007CF4: D1CB004D 05360909
	v_fma_f32 v78, v10, v4, v78                                // 000000007CFC: D1CB004E 053A090A
	v_fma_f32 v79, v11, v4, v79                                // 000000007D04: D1CB004F 053E090B
	v_mul_f32_dpp v4, v24, v44 row_newbcast:0 row_mask:0xf bank_mask:0xf// 000000007D0C: 0A0858FA FF015018
	v_mfma_f32_16x16x32_fp8_fp8 v[8:11], a[88:89], a[48:49], 0 // 000000007D14: D3F30008 1A026158
	buffer_load_dword v54, s[20:23], 0 offen lds               // 000000007D1C: E0511000 80050036
	s_add_u32 m0, 0x700, s49                                   // 000000007D24: 807C31FF 00000700
	v_mfma_f32_16x16x32_fp8_fp8 v[8:11], a[90:91], a[50:51], v[8:11]// 000000007D2C: D3F30008 1C22655A
	v_mfma_f32_16x16x32_fp8_fp8 v[8:11], a[92:93], a[52:53], v[8:11]// 000000007D34: D3F30008 1C22695C
	buffer_load_dword v55, s[20:23], 0 offen lds               // 000000007D3C: E0511000 80050037
	s_add_u32 m0, 0x800, s49                                   // 000000007D44: 807C31FF 00000800
	v_mfma_f32_16x16x32_fp8_fp8 v[8:11], a[94:95], a[54:55], v[8:11]// 000000007D4C: D3F30008 1C226D5E
	v_fma_f32 v80, v12, v6, v80                                // 000000007D54: D1CB0050 05420D0C
	v_fma_f32 v81, v13, v6, v81                                // 000000007D5C: D1CB0051 05460D0D
	v_fma_f32 v82, v14, v6, v82                                // 000000007D64: D1CB0052 054A0D0E
	v_fma_f32 v83, v15, v6, v83                                // 000000007D6C: D1CB0053 054E0D0F
	v_mul_f32_dpp v6, v24, v45 row_newbcast:0 row_mask:0xf bank_mask:0xf// 000000007D74: 0A0C5AFA FF015018
	v_mfma_f32_16x16x32_fp8_fp8 v[12:15], a[88:89], a[56:57], 0// 000000007D7C: D3F3000C 1A027158
	buffer_load_dword v56, s[20:23], 0 offen lds               // 000000007D84: E0511000 80050038
	s_add_u32 m0, 0x900, s49                                   // 000000007D8C: 807C31FF 00000900
	v_mfma_f32_16x16x32_fp8_fp8 v[12:15], a[90:91], a[58:59], v[12:15]// 000000007D94: D3F3000C 1C32755A
	v_mfma_f32_16x16x32_fp8_fp8 v[12:15], a[92:93], a[60:61], v[12:15]// 000000007D9C: D3F3000C 1C32795C
	buffer_load_dword v57, s[20:23], 0 offen lds               // 000000007DA4: E0511000 80050039
	s_add_u32 m0, 0, s48                                       // 000000007DAC: 807C3080
	v_mfma_f32_16x16x32_fp8_fp8 v[12:15], a[94:95], a[62:63], v[12:15]// 000000007DB0: D3F3000C 1C327D5E
	v_fma_f32 v84, v8, v4, v84                                 // 000000007DB8: D1CB0054 05520908
	v_fma_f32 v85, v9, v4, v85                                 // 000000007DC0: D1CB0055 05560909
	v_fma_f32 v86, v10, v4, v86                                // 000000007DC8: D1CB0056 055A090A
	v_fma_f32 v87, v11, v4, v87                                // 000000007DD0: D1CB0057 055E090B
	v_mul_f32_dpp v4, v24, v46 row_newbcast:0 row_mask:0xf bank_mask:0xf// 000000007DD8: 0A085CFA FF015018
	v_mfma_f32_16x16x32_fp8_fp8 v[8:11], a[88:89], a[64:65], 0 // 000000007DE0: D3F30008 1A028158
	buffer_load_dword v38, v28, s[28:31], 0 offen              // 000000007DE8: E0501000 8007261C
	v_mfma_f32_16x16x32_fp8_fp8 v[8:11], a[90:91], a[66:67], v[8:11]// 000000007DF0: D3F30008 1C22855A
	v_mfma_f32_16x16x32_fp8_fp8 v[8:11], a[92:93], a[68:69], v[8:11]// 000000007DF8: D3F30008 1C22895C
	buffer_load_dword v39, v29, s[28:31], 0 offen              // 000000007E00: E0501000 8007271D
	v_mfma_f32_16x16x32_fp8_fp8 v[8:11], a[94:95], a[70:71], v[8:11]// 000000007E08: D3F30008 1C228D5E
	v_fma_f32 v88, v12, v6, v88                                // 000000007E10: D1CB0058 05620D0C
	v_fma_f32 v89, v13, v6, v89                                // 000000007E18: D1CB0059 05660D0D
	v_fma_f32 v90, v14, v6, v90                                // 000000007E20: D1CB005A 056A0D0E
	v_fma_f32 v91, v15, v6, v91                                // 000000007E28: D1CB005B 056E0D0F
	v_mul_f32_dpp v6, v24, v47 row_newbcast:0 row_mask:0xf bank_mask:0xf// 000000007E30: 0A0C5EFA FF015018
	v_mfma_f32_16x16x32_fp8_fp8 v[12:15], a[88:89], a[72:73], 0// 000000007E38: D3F3000C 1A029158
	buffer_load_dword v40, v30, s[28:31], 0 offen              // 000000007E40: E0501000 8007281E
	v_mfma_f32_16x16x32_fp8_fp8 v[12:15], a[90:91], a[74:75], v[12:15]// 000000007E48: D3F3000C 1C32955A
	s_add_u32 s60, 0x80, s80                                   // 000000007E50: 803C50FF 00000080
	s_cmp_lt_u32 s60, s81                                      // 000000007E58: BF0A513C
	s_cselect_b32 s83, s83, 0                                  // 000000007E5C: 85538053
	s_cselect_b32 s4, s4, 0                                    // 000000007E60: 85048004
	v_mfma_f32_16x16x32_fp8_fp8 v[12:15], a[92:93], a[76:77], v[12:15]// 000000007E64: D3F3000C 1C32995C
	buffer_load_dword v41, v31, s[28:31], 0 offen              // 000000007E6C: E0501000 8007291F
	s_add_u32 s32, s4, s32                                     // 000000007E74: 80202004
	s_addc_u32 s33, 0, s33                                     // 000000007E78: 82212180
	v_mfma_f32_16x16x32_fp8_fp8 v[12:15], a[94:95], a[78:79], v[12:15]// 000000007E7C: D3F3000C 1C329D5E
	v_fma_f32 v92, v8, v4, v92                                 // 000000007E84: D1CB005C 05720908
	v_fma_f32 v93, v9, v4, v93                                 // 000000007E8C: D1CB005D 05760909
	v_fma_f32 v94, v10, v4, v94                                // 000000007E94: D1CB005E 057A090A
	v_fma_f32 v95, v11, v4, v95                                // 000000007E9C: D1CB005F 057E090B
	v_fma_f32 v96, v12, v6, v96                                // 000000007EA4: D1CB0060 05820D0C
	v_fma_f32 v97, v13, v6, v97                                // 000000007EAC: D1CB0061 05860D0D
	v_fma_f32 v98, v14, v6, v98                                // 000000007EB4: D1CB0062 058A0D0E
	v_fma_f32 v99, v15, v6, v99                                // 000000007EBC: D1CB0063 058E0D0F
	buffer_load_dword v42, v32, s[28:31], 0 offen              // 000000007EC4: E0501000 80072A20
	s_waitcnt vmcnt(15)                                        // 000000007ECC: BF8C0F7F
	v_mul_f32_dpp v4, v27, v43 row_newbcast:0 row_mask:0xf bank_mask:0xf// 000000007ED0: 0A0856FA FF01501B
	v_mfma_f32_16x16x32_fp8_fp8 v[8:11], a[96:97], a[40:41], 0 // 000000007ED8: D3F30008 1A025160
	buffer_load_dword v24, v22, s[32:35], 0 offen              // 000000007EE0: E0501000 80081816
	buffer_load_dwordx4 a[80:83], v58, s[24:27], 0 offen       // 000000007EE8: E05C1000 8086503A
	v_mfma_f32_16x16x32_fp8_fp8 v[8:11], a[98:99], a[42:43], v[8:11]// 000000007EF0: D3F30008 1C225562
	v_mfma_f32_16x16x32_fp8_fp8 v[8:11], a[100:101], a[44:45], v[8:11]// 000000007EF8: D3F30008 1C225964
	ds_read_b128 a[0:3], v2                                    // 000000007F00: DBFE0000 00000002
	ds_read_b128 a[4:7], v2 offset:64                          // 000000007F08: DBFE0040 04000002
	v_mfma_f32_16x16x32_fp8_fp8 v[8:11], a[102:103], a[46:47], v[8:11]// 000000007F10: D3F30008 1C225D66
	v_mfma_f32_16x16x32_fp8_fp8 v[12:15], a[104:105], a[40:41], 0// 000000007F18: D3F3000C 1A025168
	buffer_load_dwordx4 a[84:87], v58, s[24:27], 0 offen offset:1024// 000000007F20: E05C1400 8086543A
	v_mfma_f32_16x16x32_fp8_fp8 v[12:15], a[106:107], a[42:43], v[12:15]// 000000007F28: D3F3000C 1C32556A
	v_mfma_f32_16x16x32_fp8_fp8 v[12:15], a[108:109], a[44:45], v[12:15]// 000000007F30: D3F3000C 1C32596C
	ds_read_b128 a[8:11], v2 offset:512                        // 000000007F38: DBFE0200 08000002
	ds_read_b128 a[12:15], v2 offset:576                       // 000000007F40: DBFE0240 0C000002
	v_mfma_f32_16x16x32_fp8_fp8 v[12:15], a[110:111], a[46:47], v[12:15]// 000000007F48: D3F3000C 1C325D6E
	v_fma_f32 v100, v8, v4, v100                               // 000000007F50: D1CB0064 05920908
	v_fma_f32 v101, v9, v4, v101                               // 000000007F58: D1CB0065 05960909
	v_fma_f32 v102, v10, v4, v102                              // 000000007F60: D1CB0066 059A090A
	v_fma_f32 v103, v11, v4, v103                              // 000000007F68: D1CB0067 059E090B
	v_mul_f32_dpp v6, v27, v44 row_newbcast:0 row_mask:0xf bank_mask:0xf// 000000007F70: 0A0C58FA FF01501B
	v_mfma_f32_16x16x32_fp8_fp8 v[8:11], a[96:97], a[48:49], 0 // 000000007F78: D3F30008 1A026160
	buffer_load_dwordx4 a[88:91], v59, s[24:27], 0 offen       // 000000007F80: E05C1000 8086583B
	v_mfma_f32_16x16x32_fp8_fp8 v[8:11], a[98:99], a[50:51], v[8:11]// 000000007F88: D3F30008 1C226562
	v_mfma_f32_16x16x32_fp8_fp8 v[8:11], a[100:101], a[52:53], v[8:11]// 000000007F90: D3F30008 1C226964
	ds_read_b128 a[16:19], v2 offset:1024                      // 000000007F98: DBFE0400 10000002
	ds_read_b128 a[20:23], v2 offset:1088                      // 000000007FA0: DBFE0440 14000002
	v_mfma_f32_16x16x32_fp8_fp8 v[8:11], a[102:103], a[54:55], v[8:11]// 000000007FA8: D3F30008 1C226D66
	v_fma_f32 v120, v12, v4, v120                              // 000000007FB0: D1CB0078 05E2090C
	v_fma_f32 v121, v13, v4, v121                              // 000000007FB8: D1CB0079 05E6090D
	v_fma_f32 v122, v14, v4, v122                              // 000000007FC0: D1CB007A 05EA090E
	v_fma_f32 v123, v15, v4, v123                              // 000000007FC8: D1CB007B 05EE090F
	v_mfma_f32_16x16x32_fp8_fp8 v[12:15], a[104:105], a[48:49], 0// 000000007FD0: D3F3000C 1A026168
	buffer_load_dwordx4 a[92:95], v59, s[24:27], 0 offen offset:1024// 000000007FD8: E05C1400 80865C3B
	v_mfma_f32_16x16x32_fp8_fp8 v[12:15], a[106:107], a[50:51], v[12:15]// 000000007FE0: D3F3000C 1C32656A
	v_mfma_f32_16x16x32_fp8_fp8 v[12:15], a[108:109], a[52:53], v[12:15]// 000000007FE8: D3F3000C 1C32696C
	ds_read_b128 a[24:27], v2 offset:1536                      // 000000007FF0: DBFE0600 18000002
	ds_read_b128 a[28:31], v2 offset:1600                      // 000000007FF8: DBFE0640 1C000002
	v_mfma_f32_16x16x32_fp8_fp8 v[12:15], a[110:111], a[54:55], v[12:15]// 000000008000: D3F3000C 1C326D6E
	v_fma_f32 v104, v8, v6, v104                               // 000000008008: D1CB0068 05A20D08
	v_fma_f32 v105, v9, v6, v105                               // 000000008010: D1CB0069 05A60D09
	v_fma_f32 v106, v10, v6, v106                              // 000000008018: D1CB006A 05AA0D0A
	v_fma_f32 v107, v11, v6, v107                              // 000000008020: D1CB006B 05AE0D0B
	v_mul_f32_dpp v4, v27, v45 row_newbcast:0 row_mask:0xf bank_mask:0xf// 000000008028: 0A085AFA FF01501B
	v_mfma_f32_16x16x32_fp8_fp8 v[8:11], a[96:97], a[56:57], 0 // 000000008030: D3F30008 1A027160
	v_mfma_f32_16x16x32_fp8_fp8 v[8:11], a[98:99], a[58:59], v[8:11]// 000000008038: D3F30008 1C227562
	v_mfma_f32_16x16x32_fp8_fp8 v[8:11], a[100:101], a[60:61], v[8:11]// 000000008040: D3F30008 1C227964
	ds_read_b128 a[32:35], v2 offset:2048                      // 000000008048: DBFE0800 20000002
	ds_read_b128 a[36:39], v2 offset:2112                      // 000000008050: DBFE0840 24000002
	v_mfma_f32_16x16x32_fp8_fp8 v[8:11], a[102:103], a[62:63], v[8:11]// 000000008058: D3F30008 1C227D66
	v_fma_f32 v124, v12, v6, v124                              // 000000008060: D1CB007C 05F20D0C
	v_fma_f32 v125, v13, v6, v125                              // 000000008068: D1CB007D 05F60D0D
	v_fma_f32 v126, v14, v6, v126                              // 000000008070: D1CB007E 05FA0D0E
	v_fma_f32 v127, v15, v6, v127                              // 000000008078: D1CB007F 05FE0D0F
	v_mfma_f32_16x16x32_fp8_fp8 v[12:15], a[104:105], a[56:57], 0// 000000008080: D3F3000C 1A027168
	v_mfma_f32_16x16x32_fp8_fp8 v[12:15], a[106:107], a[58:59], v[12:15]// 000000008088: D3F3000C 1C32756A
	v_mfma_f32_16x16x32_fp8_fp8 v[12:15], a[108:109], a[60:61], v[12:15]// 000000008090: D3F3000C 1C32796C
	v_mfma_f32_16x16x32_fp8_fp8 v[12:15], a[110:111], a[62:63], v[12:15]// 000000008098: D3F3000C 1C327D6E
	v_fma_f32 v108, v8, v4, v108                               // 0000000080A0: D1CB006C 05B20908
	v_fma_f32 v109, v9, v4, v109                               // 0000000080A8: D1CB006D 05B60909
	v_fma_f32 v110, v10, v4, v110                              // 0000000080B0: D1CB006E 05BA090A
	v_fma_f32 v111, v11, v4, v111                              // 0000000080B8: D1CB006F 05BE090B
	v_mul_f32_dpp v6, v27, v46 row_newbcast:0 row_mask:0xf bank_mask:0xf// 0000000080C0: 0A0C5CFA FF01501B
	v_mfma_f32_16x16x32_fp8_fp8 v[8:11], a[96:97], a[64:65], 0 // 0000000080C8: D3F30008 1A028160
	v_mfma_f32_16x16x32_fp8_fp8 v[8:11], a[98:99], a[66:67], v[8:11]// 0000000080D0: D3F30008 1C228562
	v_mfma_f32_16x16x32_fp8_fp8 v[8:11], a[100:101], a[68:69], v[8:11]// 0000000080D8: D3F30008 1C228964
	v_mfma_f32_16x16x32_fp8_fp8 v[8:11], a[102:103], a[70:71], v[8:11]// 0000000080E0: D3F30008 1C228D66
	v_fma_f32 v128, v12, v4, v128                              // 0000000080E8: D1CB0080 0602090C
	v_fma_f32 v129, v13, v4, v129                              // 0000000080F0: D1CB0081 0606090D
	v_fma_f32 v130, v14, v4, v130                              // 0000000080F8: D1CB0082 060A090E
	v_fma_f32 v131, v15, v4, v131                              // 000000008100: D1CB0083 060E090F
	v_mfma_f32_16x16x32_fp8_fp8 v[12:15], a[104:105], a[64:65], 0// 000000008108: D3F3000C 1A028168
	v_mfma_f32_16x16x32_fp8_fp8 v[12:15], a[106:107], a[66:67], v[12:15]// 000000008110: D3F3000C 1C32856A
	v_mfma_f32_16x16x32_fp8_fp8 v[12:15], a[108:109], a[68:69], v[12:15]// 000000008118: D3F3000C 1C32896C
	v_mfma_f32_16x16x32_fp8_fp8 v[12:15], a[110:111], a[70:71], v[12:15]// 000000008120: D3F3000C 1C328D6E
	v_fma_f32 v112, v8, v6, v112                               // 000000008128: D1CB0070 05C20D08
	v_fma_f32 v113, v9, v6, v113                               // 000000008130: D1CB0071 05C60D09
	v_fma_f32 v114, v10, v6, v114                              // 000000008138: D1CB0072 05CA0D0A
	v_fma_f32 v115, v11, v6, v115                              // 000000008140: D1CB0073 05CE0D0B
	v_mul_f32_dpp v4, v27, v47 row_newbcast:0 row_mask:0xf bank_mask:0xf// 000000008148: 0A085EFA FF01501B
	v_mfma_f32_16x16x32_fp8_fp8 v[8:11], a[96:97], a[72:73], 0 // 000000008150: D3F30008 1A029160
	v_mfma_f32_16x16x32_fp8_fp8 v[8:11], a[98:99], a[74:75], v[8:11]// 000000008158: D3F30008 1C229562
	v_mfma_f32_16x16x32_fp8_fp8 v[8:11], a[100:101], a[76:77], v[8:11]// 000000008160: D3F30008 1C229964
	s_add_u32 s60, 0x180, s80                                  // 000000008168: 803C50FF 00000180
	s_cmp_lt_u32 s60, s81                                      // 000000008170: BF0A513C
	s_cselect_b32 s57, s57, 0                                  // 000000008174: 85398039
	s_cselect_b32 s3, s3, 0                                    // 000000008178: 85038003
	v_mfma_f32_16x16x32_fp8_fp8 v[8:11], a[102:103], a[78:79], v[8:11]// 00000000817C: D3F30008 1C229D66
	s_add_u32 s60, 0x100, s80                                  // 000000008184: 803C50FF 00000100
	s_cmp_lt_u32 s60, s81                                      // 00000000818C: BF0A513C
	s_cselect_b32 s58, s58, 0                                  // 000000008190: 853A803A
	v_fma_f32 v132, v12, v6, v132                              // 000000008194: D1CB0084 06120D0C
	v_fma_f32 v133, v13, v6, v133                              // 00000000819C: D1CB0085 06160D0D
	v_fma_f32 v134, v14, v6, v134                              // 0000000081A4: D1CB0086 061A0D0E
	v_fma_f32 v135, v15, v6, v135                              // 0000000081AC: D1CB0087 061E0D0F
	v_mfma_f32_16x16x32_fp8_fp8 v[12:15], a[104:105], a[72:73], 0// 0000000081B4: D3F3000C 1A029168
	s_add_u32 s24, s58, s24                                    // 0000000081BC: 8018183A
	s_addc_u32 s25, 0, s25                                     // 0000000081C0: 82191980
	v_mfma_f32_16x16x32_fp8_fp8 v[12:15], a[106:107], a[74:75], v[12:15]// 0000000081C4: D3F3000C 1C32956A
	s_add_u32 s20, s57, s20                                    // 0000000081CC: 80141439
	s_addc_u32 s21, 0, s21                                     // 0000000081D0: 82151580
	s_add_u32 s28, s3, s28                                     // 0000000081D4: 801C1C03
	s_addc_u32 s29, 0, s29                                     // 0000000081D8: 821D1D80
	v_mfma_f32_16x16x32_fp8_fp8 v[12:15], a[108:109], a[76:77], v[12:15]// 0000000081DC: D3F3000C 1C32996C
	s_add_u32 s84, s83, s84                                    // 0000000081E4: 80545453
	s_addc_u32 s85, 0, s85                                     // 0000000081E8: 82555580
	v_mfma_f32_16x16x32_fp8_fp8 v[12:15], a[110:111], a[78:79], v[12:15]// 0000000081EC: D3F3000C 1C329D6E
	v_fma_f32 v116, v8, v4, v116                               // 0000000081F4: D1CB0074 05D20908
	v_fma_f32 v117, v9, v4, v117                               // 0000000081FC: D1CB0075 05D60909
	v_fma_f32 v118, v10, v4, v118                              // 000000008204: D1CB0076 05DA090A
	v_fma_f32 v119, v11, v4, v119                              // 00000000820C: D1CB0077 05DE090B
	v_fma_f32 v136, v12, v4, v136                              // 000000008214: D1CB0088 0622090C
	v_fma_f32 v137, v13, v4, v137                              // 00000000821C: D1CB0089 0626090D
	v_fma_f32 v138, v14, v4, v138                              // 000000008224: D1CB008A 062A090E
	v_fma_f32 v139, v15, v4, v139                              // 00000000822C: D1CB008B 062E090F
	s_addk_i32 s80, 0x80                                       // 000000008234: B7500080
	s_cmp_lt_i32 s80, s81                                      // 000000008238: BF045150
	s_cbranch_scc0 label_1614                                  // 00000000823C: BF840001
	s_branch label_125D                                        // 000000008240: BF82FC49

0000000000008244 <label_1614>:
	s_cmp_eq_u32 s88, 0                                        // 000000008244: BF068058
	s_cbranch_scc0 label_1CE2                                  // 000000008248: BF8406CC
	s_cmp_eq_u32 s89, 0                                        // 00000000824C: BF068059
	s_cbranch_scc1 label_17AD                                  // 000000008250: BF850195
	v_mov_b32_e32 v8, v1                                       // 000000008254: 7E100301
	v_mov_b32_e32 v9, v1                                       // 000000008258: 7E120301
	s_mov_b32 s60, s6                                          // 00000000825C: BEBC0006
	s_mov_b32 s61, s6                                          // 000000008260: BEBD0006
	v_pk_mul_f32 v[4:5], v[60:61], v[60:61]                    // 000000008264: D3B14004 1802793C
	v_pk_mul_f32 v[6:7], v[62:63], v[62:63]                    // 00000000826C: D3B14006 18027D3E
	v_pk_fma_f32 v[4:5], v[4:5], s[78:79], v[8:9]              // 000000008274: D3B04004 1C209D04
	v_pk_fma_f32 v[6:7], v[6:7], s[78:79], v[8:9]              // 00000000827C: D3B04006 1C209D06
	v_pk_mul_f32 v[4:5], v[4:5], v[60:61]                      // 000000008284: D3B14004 18027904
	v_pk_mul_f32 v[6:7], v[6:7], v[62:63]                      // 00000000828C: D3B14006 18027D06
	v_pk_mul_f32 v[4:5], v[4:5], s[60:61]                      // 000000008294: D3B14004 18007904
	v_pk_mul_f32 v[6:7], v[6:7], s[60:61]                      // 00000000829C: D3B14006 18007906
	v_exp_f32_e32 v4, v4                                       // 0000000082A4: 7E084104
	v_exp_f32_e32 v5, v5                                       // 0000000082A8: 7E0A4105
	v_exp_f32_e32 v6, v6                                       // 0000000082AC: 7E0C4106
	v_exp_f32_e32 v7, v7                                       // 0000000082B0: 7E0E4107
	v_add_f32_e64 v4, v4, 1.0                                  // 0000000082B4: D1010004 0001E504
	v_add_f32_e64 v5, v5, 1.0                                  // 0000000082BC: D1010005 0001E505
	v_add_f32_e64 v6, v6, 1.0                                  // 0000000082C4: D1010006 0001E506
	v_add_f32_e64 v7, v7, 1.0                                  // 0000000082CC: D1010007 0001E507
	v_rcp_f32_e32 v4, v4                                       // 0000000082D4: 7E084504
	v_rcp_f32_e32 v5, v5                                       // 0000000082D8: 7E0A4505
	v_rcp_f32_e32 v6, v6                                       // 0000000082DC: 7E0C4506
	v_rcp_f32_e32 v7, v7                                       // 0000000082E0: 7E0E4507
	v_mul_f32_e32 v60, v60, v4                                 // 0000000082E4: 0A78093C
	v_mul_f32_e32 v61, v61, v5                                 // 0000000082E8: 0A7A0B3D
	v_mul_f32_e32 v62, v62, v6                                 // 0000000082EC: 0A7C0D3E
	v_mul_f32_e32 v63, v63, v7                                 // 0000000082F0: 0A7E0F3F
	v_mul_f32_e32 v60, v60, v100                               // 0000000082F4: 0A78C93C
	v_mul_f32_e32 v61, v61, v101                               // 0000000082F8: 0A7ACB3D
	v_mul_f32_e32 v62, v62, v102                               // 0000000082FC: 0A7CCD3E
	v_mul_f32_e32 v63, v63, v103                               // 000000008300: 0A7ECF3F
	v_pk_mul_f32 v[4:5], v[64:65], v[64:65]                    // 000000008304: D3B14004 18028140
	v_pk_mul_f32 v[6:7], v[66:67], v[66:67]                    // 00000000830C: D3B14006 18028542
	v_pk_fma_f32 v[4:5], v[4:5], s[78:79], v[8:9]              // 000000008314: D3B04004 1C209D04
	v_pk_fma_f32 v[6:7], v[6:7], s[78:79], v[8:9]              // 00000000831C: D3B04006 1C209D06
	v_pk_mul_f32 v[4:5], v[4:5], v[64:65]                      // 000000008324: D3B14004 18028104
	v_pk_mul_f32 v[6:7], v[6:7], v[66:67]                      // 00000000832C: D3B14006 18028506
	v_pk_mul_f32 v[4:5], v[4:5], s[60:61]                      // 000000008334: D3B14004 18007904
	v_pk_mul_f32 v[6:7], v[6:7], s[60:61]                      // 00000000833C: D3B14006 18007906
	v_exp_f32_e32 v4, v4                                       // 000000008344: 7E084104
	v_exp_f32_e32 v5, v5                                       // 000000008348: 7E0A4105
	v_exp_f32_e32 v6, v6                                       // 00000000834C: 7E0C4106
	v_exp_f32_e32 v7, v7                                       // 000000008350: 7E0E4107
	v_add_f32_e64 v4, v4, 1.0                                  // 000000008354: D1010004 0001E504
	v_add_f32_e64 v5, v5, 1.0                                  // 00000000835C: D1010005 0001E505
	v_add_f32_e64 v6, v6, 1.0                                  // 000000008364: D1010006 0001E506
	v_add_f32_e64 v7, v7, 1.0                                  // 00000000836C: D1010007 0001E507
	v_rcp_f32_e32 v4, v4                                       // 000000008374: 7E084504
	v_rcp_f32_e32 v5, v5                                       // 000000008378: 7E0A4505
	v_rcp_f32_e32 v6, v6                                       // 00000000837C: 7E0C4506
	v_rcp_f32_e32 v7, v7                                       // 000000008380: 7E0E4507
	v_mul_f32_e32 v64, v64, v4                                 // 000000008384: 0A800940
	v_mul_f32_e32 v65, v65, v5                                 // 000000008388: 0A820B41
	v_mul_f32_e32 v66, v66, v6                                 // 00000000838C: 0A840D42
	v_mul_f32_e32 v67, v67, v7                                 // 000000008390: 0A860F43
	v_mul_f32_e32 v64, v64, v104                               // 000000008394: 0A80D140
	v_mul_f32_e32 v65, v65, v105                               // 000000008398: 0A82D341
	v_mul_f32_e32 v66, v66, v106                               // 00000000839C: 0A84D542
	v_mul_f32_e32 v67, v67, v107                               // 0000000083A0: 0A86D743
	v_pk_mul_f32 v[4:5], v[68:69], v[68:69]                    // 0000000083A4: D3B14004 18028944
	v_pk_mul_f32 v[6:7], v[70:71], v[70:71]                    // 0000000083AC: D3B14006 18028D46
	v_pk_fma_f32 v[4:5], v[4:5], s[78:79], v[8:9]              // 0000000083B4: D3B04004 1C209D04
	v_pk_fma_f32 v[6:7], v[6:7], s[78:79], v[8:9]              // 0000000083BC: D3B04006 1C209D06
	v_pk_mul_f32 v[4:5], v[4:5], v[68:69]                      // 0000000083C4: D3B14004 18028904
	v_pk_mul_f32 v[6:7], v[6:7], v[70:71]                      // 0000000083CC: D3B14006 18028D06
	v_pk_mul_f32 v[4:5], v[4:5], s[60:61]                      // 0000000083D4: D3B14004 18007904
	v_pk_mul_f32 v[6:7], v[6:7], s[60:61]                      // 0000000083DC: D3B14006 18007906
	v_exp_f32_e32 v4, v4                                       // 0000000083E4: 7E084104
	v_exp_f32_e32 v5, v5                                       // 0000000083E8: 7E0A4105
	v_exp_f32_e32 v6, v6                                       // 0000000083EC: 7E0C4106
	v_exp_f32_e32 v7, v7                                       // 0000000083F0: 7E0E4107
	v_add_f32_e64 v4, v4, 1.0                                  // 0000000083F4: D1010004 0001E504
	v_add_f32_e64 v5, v5, 1.0                                  // 0000000083FC: D1010005 0001E505
	v_add_f32_e64 v6, v6, 1.0                                  // 000000008404: D1010006 0001E506
	v_add_f32_e64 v7, v7, 1.0                                  // 00000000840C: D1010007 0001E507
	v_rcp_f32_e32 v4, v4                                       // 000000008414: 7E084504
	v_rcp_f32_e32 v5, v5                                       // 000000008418: 7E0A4505
	v_rcp_f32_e32 v6, v6                                       // 00000000841C: 7E0C4506
	v_rcp_f32_e32 v7, v7                                       // 000000008420: 7E0E4507
	v_mul_f32_e32 v68, v68, v4                                 // 000000008424: 0A880944
	v_mul_f32_e32 v69, v69, v5                                 // 000000008428: 0A8A0B45
	v_mul_f32_e32 v70, v70, v6                                 // 00000000842C: 0A8C0D46
	v_mul_f32_e32 v71, v71, v7                                 // 000000008430: 0A8E0F47
	v_mul_f32_e32 v68, v68, v108                               // 000000008434: 0A88D944
	v_mul_f32_e32 v69, v69, v109                               // 000000008438: 0A8ADB45
	v_mul_f32_e32 v70, v70, v110                               // 00000000843C: 0A8CDD46
	v_mul_f32_e32 v71, v71, v111                               // 000000008440: 0A8EDF47
	v_pk_mul_f32 v[4:5], v[72:73], v[72:73]                    // 000000008444: D3B14004 18029148
	v_pk_mul_f32 v[6:7], v[74:75], v[74:75]                    // 00000000844C: D3B14006 1802954A
	v_pk_fma_f32 v[4:5], v[4:5], s[78:79], v[8:9]              // 000000008454: D3B04004 1C209D04
	v_pk_fma_f32 v[6:7], v[6:7], s[78:79], v[8:9]              // 00000000845C: D3B04006 1C209D06
	v_pk_mul_f32 v[4:5], v[4:5], v[72:73]                      // 000000008464: D3B14004 18029104
	v_pk_mul_f32 v[6:7], v[6:7], v[74:75]                      // 00000000846C: D3B14006 18029506
	v_pk_mul_f32 v[4:5], v[4:5], s[60:61]                      // 000000008474: D3B14004 18007904
	v_pk_mul_f32 v[6:7], v[6:7], s[60:61]                      // 00000000847C: D3B14006 18007906
	v_exp_f32_e32 v4, v4                                       // 000000008484: 7E084104
	v_exp_f32_e32 v5, v5                                       // 000000008488: 7E0A4105
	v_exp_f32_e32 v6, v6                                       // 00000000848C: 7E0C4106
	v_exp_f32_e32 v7, v7                                       // 000000008490: 7E0E4107
	v_add_f32_e64 v4, v4, 1.0                                  // 000000008494: D1010004 0001E504
	v_add_f32_e64 v5, v5, 1.0                                  // 00000000849C: D1010005 0001E505
	v_add_f32_e64 v6, v6, 1.0                                  // 0000000084A4: D1010006 0001E506
	v_add_f32_e64 v7, v7, 1.0                                  // 0000000084AC: D1010007 0001E507
	v_rcp_f32_e32 v4, v4                                       // 0000000084B4: 7E084504
	v_rcp_f32_e32 v5, v5                                       // 0000000084B8: 7E0A4505
	v_rcp_f32_e32 v6, v6                                       // 0000000084BC: 7E0C4506
	v_rcp_f32_e32 v7, v7                                       // 0000000084C0: 7E0E4507
	v_mul_f32_e32 v72, v72, v4                                 // 0000000084C4: 0A900948
	v_mul_f32_e32 v73, v73, v5                                 // 0000000084C8: 0A920B49
	v_mul_f32_e32 v74, v74, v6                                 // 0000000084CC: 0A940D4A
	v_mul_f32_e32 v75, v75, v7                                 // 0000000084D0: 0A960F4B
	v_mul_f32_e32 v72, v72, v112                               // 0000000084D4: 0A90E148
	v_mul_f32_e32 v73, v73, v113                               // 0000000084D8: 0A92E349
	v_mul_f32_e32 v74, v74, v114                               // 0000000084DC: 0A94E54A
	v_mul_f32_e32 v75, v75, v115                               // 0000000084E0: 0A96E74B
	v_pk_mul_f32 v[4:5], v[76:77], v[76:77]                    // 0000000084E4: D3B14004 1802994C
	v_pk_mul_f32 v[6:7], v[78:79], v[78:79]                    // 0000000084EC: D3B14006 18029D4E
	v_pk_fma_f32 v[4:5], v[4:5], s[78:79], v[8:9]              // 0000000084F4: D3B04004 1C209D04
	v_pk_fma_f32 v[6:7], v[6:7], s[78:79], v[8:9]              // 0000000084FC: D3B04006 1C209D06
	v_pk_mul_f32 v[4:5], v[4:5], v[76:77]                      // 000000008504: D3B14004 18029904
	v_pk_mul_f32 v[6:7], v[6:7], v[78:79]                      // 00000000850C: D3B14006 18029D06
	v_pk_mul_f32 v[4:5], v[4:5], s[60:61]                      // 000000008514: D3B14004 18007904
	v_pk_mul_f32 v[6:7], v[6:7], s[60:61]                      // 00000000851C: D3B14006 18007906
	v_exp_f32_e32 v4, v4                                       // 000000008524: 7E084104
	v_exp_f32_e32 v5, v5                                       // 000000008528: 7E0A4105
	v_exp_f32_e32 v6, v6                                       // 00000000852C: 7E0C4106
	v_exp_f32_e32 v7, v7                                       // 000000008530: 7E0E4107
	v_add_f32_e64 v4, v4, 1.0                                  // 000000008534: D1010004 0001E504
	v_add_f32_e64 v5, v5, 1.0                                  // 00000000853C: D1010005 0001E505
	v_add_f32_e64 v6, v6, 1.0                                  // 000000008544: D1010006 0001E506
	v_add_f32_e64 v7, v7, 1.0                                  // 00000000854C: D1010007 0001E507
	v_rcp_f32_e32 v4, v4                                       // 000000008554: 7E084504
	v_rcp_f32_e32 v5, v5                                       // 000000008558: 7E0A4505
	v_rcp_f32_e32 v6, v6                                       // 00000000855C: 7E0C4506
	v_rcp_f32_e32 v7, v7                                       // 000000008560: 7E0E4507
	v_mul_f32_e32 v76, v76, v4                                 // 000000008564: 0A98094C
	v_mul_f32_e32 v77, v77, v5                                 // 000000008568: 0A9A0B4D
	v_mul_f32_e32 v78, v78, v6                                 // 00000000856C: 0A9C0D4E
	v_mul_f32_e32 v79, v79, v7                                 // 000000008570: 0A9E0F4F
	v_mul_f32_e32 v76, v76, v116                               // 000000008574: 0A98E94C
	v_mul_f32_e32 v77, v77, v117                               // 000000008578: 0A9AEB4D
	v_mul_f32_e32 v78, v78, v118                               // 00000000857C: 0A9CED4E
	v_mul_f32_e32 v79, v79, v119                               // 000000008580: 0A9EEF4F
	v_pk_mul_f32 v[4:5], v[80:81], v[80:81]                    // 000000008584: D3B14004 1802A150
	v_pk_mul_f32 v[6:7], v[82:83], v[82:83]                    // 00000000858C: D3B14006 1802A552
	v_pk_fma_f32 v[4:5], v[4:5], s[78:79], v[8:9]              // 000000008594: D3B04004 1C209D04
	v_pk_fma_f32 v[6:7], v[6:7], s[78:79], v[8:9]              // 00000000859C: D3B04006 1C209D06
	v_pk_mul_f32 v[4:5], v[4:5], v[80:81]                      // 0000000085A4: D3B14004 1802A104
	v_pk_mul_f32 v[6:7], v[6:7], v[82:83]                      // 0000000085AC: D3B14006 1802A506
	v_pk_mul_f32 v[4:5], v[4:5], s[60:61]                      // 0000000085B4: D3B14004 18007904
	v_pk_mul_f32 v[6:7], v[6:7], s[60:61]                      // 0000000085BC: D3B14006 18007906
	v_exp_f32_e32 v4, v4                                       // 0000000085C4: 7E084104
	v_exp_f32_e32 v5, v5                                       // 0000000085C8: 7E0A4105
	v_exp_f32_e32 v6, v6                                       // 0000000085CC: 7E0C4106
	v_exp_f32_e32 v7, v7                                       // 0000000085D0: 7E0E4107
	v_add_f32_e64 v4, v4, 1.0                                  // 0000000085D4: D1010004 0001E504
	v_add_f32_e64 v5, v5, 1.0                                  // 0000000085DC: D1010005 0001E505
	v_add_f32_e64 v6, v6, 1.0                                  // 0000000085E4: D1010006 0001E506
	v_add_f32_e64 v7, v7, 1.0                                  // 0000000085EC: D1010007 0001E507
	v_rcp_f32_e32 v4, v4                                       // 0000000085F4: 7E084504
	v_rcp_f32_e32 v5, v5                                       // 0000000085F8: 7E0A4505
	v_rcp_f32_e32 v6, v6                                       // 0000000085FC: 7E0C4506
	v_rcp_f32_e32 v7, v7                                       // 000000008600: 7E0E4507
	v_mul_f32_e32 v80, v80, v4                                 // 000000008604: 0AA00950
	v_mul_f32_e32 v81, v81, v5                                 // 000000008608: 0AA20B51
	v_mul_f32_e32 v82, v82, v6                                 // 00000000860C: 0AA40D52
	v_mul_f32_e32 v83, v83, v7                                 // 000000008610: 0AA60F53
	v_mul_f32_e32 v80, v80, v120                               // 000000008614: 0AA0F150
	v_mul_f32_e32 v81, v81, v121                               // 000000008618: 0AA2F351
	v_mul_f32_e32 v82, v82, v122                               // 00000000861C: 0AA4F552
	v_mul_f32_e32 v83, v83, v123                               // 000000008620: 0AA6F753
	v_pk_mul_f32 v[4:5], v[84:85], v[84:85]                    // 000000008624: D3B14004 1802A954
	v_pk_mul_f32 v[6:7], v[86:87], v[86:87]                    // 00000000862C: D3B14006 1802AD56
	v_pk_fma_f32 v[4:5], v[4:5], s[78:79], v[8:9]              // 000000008634: D3B04004 1C209D04
	v_pk_fma_f32 v[6:7], v[6:7], s[78:79], v[8:9]              // 00000000863C: D3B04006 1C209D06
	v_pk_mul_f32 v[4:5], v[4:5], v[84:85]                      // 000000008644: D3B14004 1802A904
	v_pk_mul_f32 v[6:7], v[6:7], v[86:87]                      // 00000000864C: D3B14006 1802AD06
	v_pk_mul_f32 v[4:5], v[4:5], s[60:61]                      // 000000008654: D3B14004 18007904
	v_pk_mul_f32 v[6:7], v[6:7], s[60:61]                      // 00000000865C: D3B14006 18007906
	v_exp_f32_e32 v4, v4                                       // 000000008664: 7E084104
	v_exp_f32_e32 v5, v5                                       // 000000008668: 7E0A4105
	v_exp_f32_e32 v6, v6                                       // 00000000866C: 7E0C4106
	v_exp_f32_e32 v7, v7                                       // 000000008670: 7E0E4107
	v_add_f32_e64 v4, v4, 1.0                                  // 000000008674: D1010004 0001E504
	v_add_f32_e64 v5, v5, 1.0                                  // 00000000867C: D1010005 0001E505
	v_add_f32_e64 v6, v6, 1.0                                  // 000000008684: D1010006 0001E506
	v_add_f32_e64 v7, v7, 1.0                                  // 00000000868C: D1010007 0001E507
	v_rcp_f32_e32 v4, v4                                       // 000000008694: 7E084504
	v_rcp_f32_e32 v5, v5                                       // 000000008698: 7E0A4505
	v_rcp_f32_e32 v6, v6                                       // 00000000869C: 7E0C4506
	v_rcp_f32_e32 v7, v7                                       // 0000000086A0: 7E0E4507
	v_mul_f32_e32 v84, v84, v4                                 // 0000000086A4: 0AA80954
	v_mul_f32_e32 v85, v85, v5                                 // 0000000086A8: 0AAA0B55
	v_mul_f32_e32 v86, v86, v6                                 // 0000000086AC: 0AAC0D56
	v_mul_f32_e32 v87, v87, v7                                 // 0000000086B0: 0AAE0F57
	v_mul_f32_e32 v84, v84, v124                               // 0000000086B4: 0AA8F954
	v_mul_f32_e32 v85, v85, v125                               // 0000000086B8: 0AAAFB55
	v_mul_f32_e32 v86, v86, v126                               // 0000000086BC: 0AACFD56
	v_mul_f32_e32 v87, v87, v127                               // 0000000086C0: 0AAEFF57
	v_pk_mul_f32 v[4:5], v[88:89], v[88:89]                    // 0000000086C4: D3B14004 1802B158
	v_pk_mul_f32 v[6:7], v[90:91], v[90:91]                    // 0000000086CC: D3B14006 1802B55A
	v_pk_fma_f32 v[4:5], v[4:5], s[78:79], v[8:9]              // 0000000086D4: D3B04004 1C209D04
	v_pk_fma_f32 v[6:7], v[6:7], s[78:79], v[8:9]              // 0000000086DC: D3B04006 1C209D06
	v_pk_mul_f32 v[4:5], v[4:5], v[88:89]                      // 0000000086E4: D3B14004 1802B104
	v_pk_mul_f32 v[6:7], v[6:7], v[90:91]                      // 0000000086EC: D3B14006 1802B506
	v_pk_mul_f32 v[4:5], v[4:5], s[60:61]                      // 0000000086F4: D3B14004 18007904
	v_pk_mul_f32 v[6:7], v[6:7], s[60:61]                      // 0000000086FC: D3B14006 18007906
	v_exp_f32_e32 v4, v4                                       // 000000008704: 7E084104
	v_exp_f32_e32 v5, v5                                       // 000000008708: 7E0A4105
	v_exp_f32_e32 v6, v6                                       // 00000000870C: 7E0C4106
	v_exp_f32_e32 v7, v7                                       // 000000008710: 7E0E4107
	v_add_f32_e64 v4, v4, 1.0                                  // 000000008714: D1010004 0001E504
	v_add_f32_e64 v5, v5, 1.0                                  // 00000000871C: D1010005 0001E505
	v_add_f32_e64 v6, v6, 1.0                                  // 000000008724: D1010006 0001E506
	v_add_f32_e64 v7, v7, 1.0                                  // 00000000872C: D1010007 0001E507
	v_rcp_f32_e32 v4, v4                                       // 000000008734: 7E084504
	v_rcp_f32_e32 v5, v5                                       // 000000008738: 7E0A4505
	v_rcp_f32_e32 v6, v6                                       // 00000000873C: 7E0C4506
	v_rcp_f32_e32 v7, v7                                       // 000000008740: 7E0E4507
	v_mul_f32_e32 v88, v88, v4                                 // 000000008744: 0AB00958
	v_mul_f32_e32 v89, v89, v5                                 // 000000008748: 0AB20B59
	v_mul_f32_e32 v90, v90, v6                                 // 00000000874C: 0AB40D5A
	v_mul_f32_e32 v91, v91, v7                                 // 000000008750: 0AB60F5B
	v_mul_f32_e32 v88, v88, v128                               // 000000008754: 0AB10158
	v_mul_f32_e32 v89, v89, v129                               // 000000008758: 0AB30359
	v_mul_f32_e32 v90, v90, v130                               // 00000000875C: 0AB5055A
	v_mul_f32_e32 v91, v91, v131                               // 000000008760: 0AB7075B
	v_pk_mul_f32 v[4:5], v[92:93], v[92:93]                    // 000000008764: D3B14004 1802B95C
	v_pk_mul_f32 v[6:7], v[94:95], v[94:95]                    // 00000000876C: D3B14006 1802BD5E
	v_pk_fma_f32 v[4:5], v[4:5], s[78:79], v[8:9]              // 000000008774: D3B04004 1C209D04
	v_pk_fma_f32 v[6:7], v[6:7], s[78:79], v[8:9]              // 00000000877C: D3B04006 1C209D06
	v_pk_mul_f32 v[4:5], v[4:5], v[92:93]                      // 000000008784: D3B14004 1802B904
	v_pk_mul_f32 v[6:7], v[6:7], v[94:95]                      // 00000000878C: D3B14006 1802BD06
	v_pk_mul_f32 v[4:5], v[4:5], s[60:61]                      // 000000008794: D3B14004 18007904
	v_pk_mul_f32 v[6:7], v[6:7], s[60:61]                      // 00000000879C: D3B14006 18007906
	v_exp_f32_e32 v4, v4                                       // 0000000087A4: 7E084104
	v_exp_f32_e32 v5, v5                                       // 0000000087A8: 7E0A4105
	v_exp_f32_e32 v6, v6                                       // 0000000087AC: 7E0C4106
	v_exp_f32_e32 v7, v7                                       // 0000000087B0: 7E0E4107
	v_add_f32_e64 v4, v4, 1.0                                  // 0000000087B4: D1010004 0001E504
	v_add_f32_e64 v5, v5, 1.0                                  // 0000000087BC: D1010005 0001E505
	v_add_f32_e64 v6, v6, 1.0                                  // 0000000087C4: D1010006 0001E506
	v_add_f32_e64 v7, v7, 1.0                                  // 0000000087CC: D1010007 0001E507
	v_rcp_f32_e32 v4, v4                                       // 0000000087D4: 7E084504
	v_rcp_f32_e32 v5, v5                                       // 0000000087D8: 7E0A4505
	v_rcp_f32_e32 v6, v6                                       // 0000000087DC: 7E0C4506
	v_rcp_f32_e32 v7, v7                                       // 0000000087E0: 7E0E4507
	v_mul_f32_e32 v92, v92, v4                                 // 0000000087E4: 0AB8095C
	v_mul_f32_e32 v93, v93, v5                                 // 0000000087E8: 0ABA0B5D
	v_mul_f32_e32 v94, v94, v6                                 // 0000000087EC: 0ABC0D5E
	v_mul_f32_e32 v95, v95, v7                                 // 0000000087F0: 0ABE0F5F
	v_mul_f32_e32 v92, v92, v132                               // 0000000087F4: 0AB9095C
	v_mul_f32_e32 v93, v93, v133                               // 0000000087F8: 0ABB0B5D
	v_mul_f32_e32 v94, v94, v134                               // 0000000087FC: 0ABD0D5E
	v_mul_f32_e32 v95, v95, v135                               // 000000008800: 0ABF0F5F
	v_pk_mul_f32 v[4:5], v[96:97], v[96:97]                    // 000000008804: D3B14004 1802C160
	v_pk_mul_f32 v[6:7], v[98:99], v[98:99]                    // 00000000880C: D3B14006 1802C562
	v_pk_fma_f32 v[4:5], v[4:5], s[78:79], v[8:9]              // 000000008814: D3B04004 1C209D04
	v_pk_fma_f32 v[6:7], v[6:7], s[78:79], v[8:9]              // 00000000881C: D3B04006 1C209D06
	v_pk_mul_f32 v[4:5], v[4:5], v[96:97]                      // 000000008824: D3B14004 1802C104
	v_pk_mul_f32 v[6:7], v[6:7], v[98:99]                      // 00000000882C: D3B14006 1802C506
	v_pk_mul_f32 v[4:5], v[4:5], s[60:61]                      // 000000008834: D3B14004 18007904
	v_pk_mul_f32 v[6:7], v[6:7], s[60:61]                      // 00000000883C: D3B14006 18007906
	v_exp_f32_e32 v4, v4                                       // 000000008844: 7E084104
	v_exp_f32_e32 v5, v5                                       // 000000008848: 7E0A4105
	v_exp_f32_e32 v6, v6                                       // 00000000884C: 7E0C4106
	v_exp_f32_e32 v7, v7                                       // 000000008850: 7E0E4107
	v_add_f32_e64 v4, v4, 1.0                                  // 000000008854: D1010004 0001E504
	v_add_f32_e64 v5, v5, 1.0                                  // 00000000885C: D1010005 0001E505
	v_add_f32_e64 v6, v6, 1.0                                  // 000000008864: D1010006 0001E506
	v_add_f32_e64 v7, v7, 1.0                                  // 00000000886C: D1010007 0001E507
	v_rcp_f32_e32 v4, v4                                       // 000000008874: 7E084504
	v_rcp_f32_e32 v5, v5                                       // 000000008878: 7E0A4505
	v_rcp_f32_e32 v6, v6                                       // 00000000887C: 7E0C4506
	v_rcp_f32_e32 v7, v7                                       // 000000008880: 7E0E4507
	v_mul_f32_e32 v96, v96, v4                                 // 000000008884: 0AC00960
	v_mul_f32_e32 v97, v97, v5                                 // 000000008888: 0AC20B61
	v_mul_f32_e32 v98, v98, v6                                 // 00000000888C: 0AC40D62
	v_mul_f32_e32 v99, v99, v7                                 // 000000008890: 0AC60F63
	v_mul_f32_e32 v96, v96, v136                               // 000000008894: 0AC11160
	v_mul_f32_e32 v97, v97, v137                               // 000000008898: 0AC31361
	v_mul_f32_e32 v98, v98, v138                               // 00000000889C: 0AC51562
	v_mul_f32_e32 v99, v99, v139                               // 0000000088A0: 0AC71763
	s_branch label_18ED                                        // 0000000088A4: BF820140

00000000000088a8 <label_17AD>:
	v_mul_f32_e64 v4, -v60, s6                                 // 0000000088A8: D1050004 20000D3C
	v_mul_f32_e64 v5, -v61, s6                                 // 0000000088B0: D1050005 20000D3D
	v_mul_f32_e64 v6, -v62, s6                                 // 0000000088B8: D1050006 20000D3E
	v_mul_f32_e64 v7, -v63, s6                                 // 0000000088C0: D1050007 20000D3F
	v_exp_f32_e32 v4, v4                                       // 0000000088C8: 7E084104
	v_exp_f32_e32 v5, v5                                       // 0000000088CC: 7E0A4105
	v_exp_f32_e32 v6, v6                                       // 0000000088D0: 7E0C4106
	v_exp_f32_e32 v7, v7                                       // 0000000088D4: 7E0E4107
	v_add_f32_e64 v4, v4, 1.0                                  // 0000000088D8: D1010004 0001E504
	v_add_f32_e64 v5, v5, 1.0                                  // 0000000088E0: D1010005 0001E505
	v_add_f32_e64 v6, v6, 1.0                                  // 0000000088E8: D1010006 0001E506
	v_add_f32_e64 v7, v7, 1.0                                  // 0000000088F0: D1010007 0001E507
	v_rcp_f32_e32 v4, v4                                       // 0000000088F8: 7E084504
	v_rcp_f32_e32 v5, v5                                       // 0000000088FC: 7E0A4505
	v_rcp_f32_e32 v6, v6                                       // 000000008900: 7E0C4506
	v_rcp_f32_e32 v7, v7                                       // 000000008904: 7E0E4507
	v_mul_f32_e32 v60, v60, v4                                 // 000000008908: 0A78093C
	v_mul_f32_e32 v61, v61, v5                                 // 00000000890C: 0A7A0B3D
	v_mul_f32_e32 v62, v62, v6                                 // 000000008910: 0A7C0D3E
	v_mul_f32_e32 v63, v63, v7                                 // 000000008914: 0A7E0F3F
	v_mul_f32_e32 v60, v60, v100                               // 000000008918: 0A78C93C
	v_mul_f32_e32 v61, v61, v101                               // 00000000891C: 0A7ACB3D
	v_mul_f32_e32 v62, v62, v102                               // 000000008920: 0A7CCD3E
	v_mul_f32_e32 v63, v63, v103                               // 000000008924: 0A7ECF3F
	v_mul_f32_e64 v4, -v64, s6                                 // 000000008928: D1050004 20000D40
	v_mul_f32_e64 v5, -v65, s6                                 // 000000008930: D1050005 20000D41
	v_mul_f32_e64 v6, -v66, s6                                 // 000000008938: D1050006 20000D42
	v_mul_f32_e64 v7, -v67, s6                                 // 000000008940: D1050007 20000D43
	v_exp_f32_e32 v4, v4                                       // 000000008948: 7E084104
	v_exp_f32_e32 v5, v5                                       // 00000000894C: 7E0A4105
	v_exp_f32_e32 v6, v6                                       // 000000008950: 7E0C4106
	v_exp_f32_e32 v7, v7                                       // 000000008954: 7E0E4107
	v_add_f32_e64 v4, v4, 1.0                                  // 000000008958: D1010004 0001E504
	v_add_f32_e64 v5, v5, 1.0                                  // 000000008960: D1010005 0001E505
	v_add_f32_e64 v6, v6, 1.0                                  // 000000008968: D1010006 0001E506
	v_add_f32_e64 v7, v7, 1.0                                  // 000000008970: D1010007 0001E507
	v_rcp_f32_e32 v4, v4                                       // 000000008978: 7E084504
	v_rcp_f32_e32 v5, v5                                       // 00000000897C: 7E0A4505
	v_rcp_f32_e32 v6, v6                                       // 000000008980: 7E0C4506
	v_rcp_f32_e32 v7, v7                                       // 000000008984: 7E0E4507
	v_mul_f32_e32 v64, v64, v4                                 // 000000008988: 0A800940
	v_mul_f32_e32 v65, v65, v5                                 // 00000000898C: 0A820B41
	v_mul_f32_e32 v66, v66, v6                                 // 000000008990: 0A840D42
	v_mul_f32_e32 v67, v67, v7                                 // 000000008994: 0A860F43
	v_mul_f32_e32 v64, v64, v104                               // 000000008998: 0A80D140
	v_mul_f32_e32 v65, v65, v105                               // 00000000899C: 0A82D341
	v_mul_f32_e32 v66, v66, v106                               // 0000000089A0: 0A84D542
	v_mul_f32_e32 v67, v67, v107                               // 0000000089A4: 0A86D743
	v_mul_f32_e64 v4, -v68, s6                                 // 0000000089A8: D1050004 20000D44
	v_mul_f32_e64 v5, -v69, s6                                 // 0000000089B0: D1050005 20000D45
	v_mul_f32_e64 v6, -v70, s6                                 // 0000000089B8: D1050006 20000D46
	v_mul_f32_e64 v7, -v71, s6                                 // 0000000089C0: D1050007 20000D47
	v_exp_f32_e32 v4, v4                                       // 0000000089C8: 7E084104
	v_exp_f32_e32 v5, v5                                       // 0000000089CC: 7E0A4105
	v_exp_f32_e32 v6, v6                                       // 0000000089D0: 7E0C4106
	v_exp_f32_e32 v7, v7                                       // 0000000089D4: 7E0E4107
	v_add_f32_e64 v4, v4, 1.0                                  // 0000000089D8: D1010004 0001E504
	v_add_f32_e64 v5, v5, 1.0                                  // 0000000089E0: D1010005 0001E505
	v_add_f32_e64 v6, v6, 1.0                                  // 0000000089E8: D1010006 0001E506
	v_add_f32_e64 v7, v7, 1.0                                  // 0000000089F0: D1010007 0001E507
	v_rcp_f32_e32 v4, v4                                       // 0000000089F8: 7E084504
	v_rcp_f32_e32 v5, v5                                       // 0000000089FC: 7E0A4505
	v_rcp_f32_e32 v6, v6                                       // 000000008A00: 7E0C4506
	v_rcp_f32_e32 v7, v7                                       // 000000008A04: 7E0E4507
	v_mul_f32_e32 v68, v68, v4                                 // 000000008A08: 0A880944
	v_mul_f32_e32 v69, v69, v5                                 // 000000008A0C: 0A8A0B45
	v_mul_f32_e32 v70, v70, v6                                 // 000000008A10: 0A8C0D46
	v_mul_f32_e32 v71, v71, v7                                 // 000000008A14: 0A8E0F47
	v_mul_f32_e32 v68, v68, v108                               // 000000008A18: 0A88D944
	v_mul_f32_e32 v69, v69, v109                               // 000000008A1C: 0A8ADB45
	v_mul_f32_e32 v70, v70, v110                               // 000000008A20: 0A8CDD46
	v_mul_f32_e32 v71, v71, v111                               // 000000008A24: 0A8EDF47
	v_mul_f32_e64 v4, -v72, s6                                 // 000000008A28: D1050004 20000D48
	v_mul_f32_e64 v5, -v73, s6                                 // 000000008A30: D1050005 20000D49
	v_mul_f32_e64 v6, -v74, s6                                 // 000000008A38: D1050006 20000D4A
	v_mul_f32_e64 v7, -v75, s6                                 // 000000008A40: D1050007 20000D4B
	v_exp_f32_e32 v4, v4                                       // 000000008A48: 7E084104
	v_exp_f32_e32 v5, v5                                       // 000000008A4C: 7E0A4105
	v_exp_f32_e32 v6, v6                                       // 000000008A50: 7E0C4106
	v_exp_f32_e32 v7, v7                                       // 000000008A54: 7E0E4107
	v_add_f32_e64 v4, v4, 1.0                                  // 000000008A58: D1010004 0001E504
	v_add_f32_e64 v5, v5, 1.0                                  // 000000008A60: D1010005 0001E505
	v_add_f32_e64 v6, v6, 1.0                                  // 000000008A68: D1010006 0001E506
	v_add_f32_e64 v7, v7, 1.0                                  // 000000008A70: D1010007 0001E507
	v_rcp_f32_e32 v4, v4                                       // 000000008A78: 7E084504
	v_rcp_f32_e32 v5, v5                                       // 000000008A7C: 7E0A4505
	v_rcp_f32_e32 v6, v6                                       // 000000008A80: 7E0C4506
	v_rcp_f32_e32 v7, v7                                       // 000000008A84: 7E0E4507
	v_mul_f32_e32 v72, v72, v4                                 // 000000008A88: 0A900948
	v_mul_f32_e32 v73, v73, v5                                 // 000000008A8C: 0A920B49
	v_mul_f32_e32 v74, v74, v6                                 // 000000008A90: 0A940D4A
	v_mul_f32_e32 v75, v75, v7                                 // 000000008A94: 0A960F4B
	v_mul_f32_e32 v72, v72, v112                               // 000000008A98: 0A90E148
	v_mul_f32_e32 v73, v73, v113                               // 000000008A9C: 0A92E349
	v_mul_f32_e32 v74, v74, v114                               // 000000008AA0: 0A94E54A
	v_mul_f32_e32 v75, v75, v115                               // 000000008AA4: 0A96E74B
	v_mul_f32_e64 v4, -v76, s6                                 // 000000008AA8: D1050004 20000D4C
	v_mul_f32_e64 v5, -v77, s6                                 // 000000008AB0: D1050005 20000D4D
	v_mul_f32_e64 v6, -v78, s6                                 // 000000008AB8: D1050006 20000D4E
	v_mul_f32_e64 v7, -v79, s6                                 // 000000008AC0: D1050007 20000D4F
	v_exp_f32_e32 v4, v4                                       // 000000008AC8: 7E084104
	v_exp_f32_e32 v5, v5                                       // 000000008ACC: 7E0A4105
	v_exp_f32_e32 v6, v6                                       // 000000008AD0: 7E0C4106
	v_exp_f32_e32 v7, v7                                       // 000000008AD4: 7E0E4107
	v_add_f32_e64 v4, v4, 1.0                                  // 000000008AD8: D1010004 0001E504
	v_add_f32_e64 v5, v5, 1.0                                  // 000000008AE0: D1010005 0001E505
	v_add_f32_e64 v6, v6, 1.0                                  // 000000008AE8: D1010006 0001E506
	v_add_f32_e64 v7, v7, 1.0                                  // 000000008AF0: D1010007 0001E507
	v_rcp_f32_e32 v4, v4                                       // 000000008AF8: 7E084504
	v_rcp_f32_e32 v5, v5                                       // 000000008AFC: 7E0A4505
	v_rcp_f32_e32 v6, v6                                       // 000000008B00: 7E0C4506
	v_rcp_f32_e32 v7, v7                                       // 000000008B04: 7E0E4507
	v_mul_f32_e32 v76, v76, v4                                 // 000000008B08: 0A98094C
	v_mul_f32_e32 v77, v77, v5                                 // 000000008B0C: 0A9A0B4D
	v_mul_f32_e32 v78, v78, v6                                 // 000000008B10: 0A9C0D4E
	v_mul_f32_e32 v79, v79, v7                                 // 000000008B14: 0A9E0F4F
	v_mul_f32_e32 v76, v76, v116                               // 000000008B18: 0A98E94C
	v_mul_f32_e32 v77, v77, v117                               // 000000008B1C: 0A9AEB4D
	v_mul_f32_e32 v78, v78, v118                               // 000000008B20: 0A9CED4E
	v_mul_f32_e32 v79, v79, v119                               // 000000008B24: 0A9EEF4F
	v_mul_f32_e64 v4, -v80, s6                                 // 000000008B28: D1050004 20000D50
	v_mul_f32_e64 v5, -v81, s6                                 // 000000008B30: D1050005 20000D51
	v_mul_f32_e64 v6, -v82, s6                                 // 000000008B38: D1050006 20000D52
	v_mul_f32_e64 v7, -v83, s6                                 // 000000008B40: D1050007 20000D53
	v_exp_f32_e32 v4, v4                                       // 000000008B48: 7E084104
	v_exp_f32_e32 v5, v5                                       // 000000008B4C: 7E0A4105
	v_exp_f32_e32 v6, v6                                       // 000000008B50: 7E0C4106
	v_exp_f32_e32 v7, v7                                       // 000000008B54: 7E0E4107
	v_add_f32_e64 v4, v4, 1.0                                  // 000000008B58: D1010004 0001E504
	v_add_f32_e64 v5, v5, 1.0                                  // 000000008B60: D1010005 0001E505
	v_add_f32_e64 v6, v6, 1.0                                  // 000000008B68: D1010006 0001E506
	v_add_f32_e64 v7, v7, 1.0                                  // 000000008B70: D1010007 0001E507
	v_rcp_f32_e32 v4, v4                                       // 000000008B78: 7E084504
	v_rcp_f32_e32 v5, v5                                       // 000000008B7C: 7E0A4505
	v_rcp_f32_e32 v6, v6                                       // 000000008B80: 7E0C4506
	v_rcp_f32_e32 v7, v7                                       // 000000008B84: 7E0E4507
	v_mul_f32_e32 v80, v80, v4                                 // 000000008B88: 0AA00950
	v_mul_f32_e32 v81, v81, v5                                 // 000000008B8C: 0AA20B51
	v_mul_f32_e32 v82, v82, v6                                 // 000000008B90: 0AA40D52
	v_mul_f32_e32 v83, v83, v7                                 // 000000008B94: 0AA60F53
	v_mul_f32_e32 v80, v80, v120                               // 000000008B98: 0AA0F150
	v_mul_f32_e32 v81, v81, v121                               // 000000008B9C: 0AA2F351
	v_mul_f32_e32 v82, v82, v122                               // 000000008BA0: 0AA4F552
	v_mul_f32_e32 v83, v83, v123                               // 000000008BA4: 0AA6F753
	v_mul_f32_e64 v4, -v84, s6                                 // 000000008BA8: D1050004 20000D54
	v_mul_f32_e64 v5, -v85, s6                                 // 000000008BB0: D1050005 20000D55
	v_mul_f32_e64 v6, -v86, s6                                 // 000000008BB8: D1050006 20000D56
	v_mul_f32_e64 v7, -v87, s6                                 // 000000008BC0: D1050007 20000D57
	v_exp_f32_e32 v4, v4                                       // 000000008BC8: 7E084104
	v_exp_f32_e32 v5, v5                                       // 000000008BCC: 7E0A4105
	v_exp_f32_e32 v6, v6                                       // 000000008BD0: 7E0C4106
	v_exp_f32_e32 v7, v7                                       // 000000008BD4: 7E0E4107
	v_add_f32_e64 v4, v4, 1.0                                  // 000000008BD8: D1010004 0001E504
	v_add_f32_e64 v5, v5, 1.0                                  // 000000008BE0: D1010005 0001E505
	v_add_f32_e64 v6, v6, 1.0                                  // 000000008BE8: D1010006 0001E506
	v_add_f32_e64 v7, v7, 1.0                                  // 000000008BF0: D1010007 0001E507
	v_rcp_f32_e32 v4, v4                                       // 000000008BF8: 7E084504
	v_rcp_f32_e32 v5, v5                                       // 000000008BFC: 7E0A4505
	v_rcp_f32_e32 v6, v6                                       // 000000008C00: 7E0C4506
	v_rcp_f32_e32 v7, v7                                       // 000000008C04: 7E0E4507
	v_mul_f32_e32 v84, v84, v4                                 // 000000008C08: 0AA80954
	v_mul_f32_e32 v85, v85, v5                                 // 000000008C0C: 0AAA0B55
	v_mul_f32_e32 v86, v86, v6                                 // 000000008C10: 0AAC0D56
	v_mul_f32_e32 v87, v87, v7                                 // 000000008C14: 0AAE0F57
	v_mul_f32_e32 v84, v84, v124                               // 000000008C18: 0AA8F954
	v_mul_f32_e32 v85, v85, v125                               // 000000008C1C: 0AAAFB55
	v_mul_f32_e32 v86, v86, v126                               // 000000008C20: 0AACFD56
	v_mul_f32_e32 v87, v87, v127                               // 000000008C24: 0AAEFF57
	v_mul_f32_e64 v4, -v88, s6                                 // 000000008C28: D1050004 20000D58
	v_mul_f32_e64 v5, -v89, s6                                 // 000000008C30: D1050005 20000D59
	v_mul_f32_e64 v6, -v90, s6                                 // 000000008C38: D1050006 20000D5A
	v_mul_f32_e64 v7, -v91, s6                                 // 000000008C40: D1050007 20000D5B
	v_exp_f32_e32 v4, v4                                       // 000000008C48: 7E084104
	v_exp_f32_e32 v5, v5                                       // 000000008C4C: 7E0A4105
	v_exp_f32_e32 v6, v6                                       // 000000008C50: 7E0C4106
	v_exp_f32_e32 v7, v7                                       // 000000008C54: 7E0E4107
	v_add_f32_e64 v4, v4, 1.0                                  // 000000008C58: D1010004 0001E504
	v_add_f32_e64 v5, v5, 1.0                                  // 000000008C60: D1010005 0001E505
	v_add_f32_e64 v6, v6, 1.0                                  // 000000008C68: D1010006 0001E506
	v_add_f32_e64 v7, v7, 1.0                                  // 000000008C70: D1010007 0001E507
	v_rcp_f32_e32 v4, v4                                       // 000000008C78: 7E084504
	v_rcp_f32_e32 v5, v5                                       // 000000008C7C: 7E0A4505
	v_rcp_f32_e32 v6, v6                                       // 000000008C80: 7E0C4506
	v_rcp_f32_e32 v7, v7                                       // 000000008C84: 7E0E4507
	v_mul_f32_e32 v88, v88, v4                                 // 000000008C88: 0AB00958
	v_mul_f32_e32 v89, v89, v5                                 // 000000008C8C: 0AB20B59
	v_mul_f32_e32 v90, v90, v6                                 // 000000008C90: 0AB40D5A
	v_mul_f32_e32 v91, v91, v7                                 // 000000008C94: 0AB60F5B
	v_mul_f32_e32 v88, v88, v128                               // 000000008C98: 0AB10158
	v_mul_f32_e32 v89, v89, v129                               // 000000008C9C: 0AB30359
	v_mul_f32_e32 v90, v90, v130                               // 000000008CA0: 0AB5055A
	v_mul_f32_e32 v91, v91, v131                               // 000000008CA4: 0AB7075B
	v_mul_f32_e64 v4, -v92, s6                                 // 000000008CA8: D1050004 20000D5C
	v_mul_f32_e64 v5, -v93, s6                                 // 000000008CB0: D1050005 20000D5D
	v_mul_f32_e64 v6, -v94, s6                                 // 000000008CB8: D1050006 20000D5E
	v_mul_f32_e64 v7, -v95, s6                                 // 000000008CC0: D1050007 20000D5F
	v_exp_f32_e32 v4, v4                                       // 000000008CC8: 7E084104
	v_exp_f32_e32 v5, v5                                       // 000000008CCC: 7E0A4105
	v_exp_f32_e32 v6, v6                                       // 000000008CD0: 7E0C4106
	v_exp_f32_e32 v7, v7                                       // 000000008CD4: 7E0E4107
	v_add_f32_e64 v4, v4, 1.0                                  // 000000008CD8: D1010004 0001E504
	v_add_f32_e64 v5, v5, 1.0                                  // 000000008CE0: D1010005 0001E505
	v_add_f32_e64 v6, v6, 1.0                                  // 000000008CE8: D1010006 0001E506
	v_add_f32_e64 v7, v7, 1.0                                  // 000000008CF0: D1010007 0001E507
	v_rcp_f32_e32 v4, v4                                       // 000000008CF8: 7E084504
	v_rcp_f32_e32 v5, v5                                       // 000000008CFC: 7E0A4505
	v_rcp_f32_e32 v6, v6                                       // 000000008D00: 7E0C4506
	v_rcp_f32_e32 v7, v7                                       // 000000008D04: 7E0E4507
	v_mul_f32_e32 v92, v92, v4                                 // 000000008D08: 0AB8095C
	v_mul_f32_e32 v93, v93, v5                                 // 000000008D0C: 0ABA0B5D
	v_mul_f32_e32 v94, v94, v6                                 // 000000008D10: 0ABC0D5E
	v_mul_f32_e32 v95, v95, v7                                 // 000000008D14: 0ABE0F5F
	v_mul_f32_e32 v92, v92, v132                               // 000000008D18: 0AB9095C
	v_mul_f32_e32 v93, v93, v133                               // 000000008D1C: 0ABB0B5D
	v_mul_f32_e32 v94, v94, v134                               // 000000008D20: 0ABD0D5E
	v_mul_f32_e32 v95, v95, v135                               // 000000008D24: 0ABF0F5F
	v_mul_f32_e64 v4, -v96, s6                                 // 000000008D28: D1050004 20000D60
	v_mul_f32_e64 v5, -v97, s6                                 // 000000008D30: D1050005 20000D61
	v_mul_f32_e64 v6, -v98, s6                                 // 000000008D38: D1050006 20000D62
	v_mul_f32_e64 v7, -v99, s6                                 // 000000008D40: D1050007 20000D63
	v_exp_f32_e32 v4, v4                                       // 000000008D48: 7E084104
	v_exp_f32_e32 v5, v5                                       // 000000008D4C: 7E0A4105
	v_exp_f32_e32 v6, v6                                       // 000000008D50: 7E0C4106
	v_exp_f32_e32 v7, v7                                       // 000000008D54: 7E0E4107
	v_add_f32_e64 v4, v4, 1.0                                  // 000000008D58: D1010004 0001E504
	v_add_f32_e64 v5, v5, 1.0                                  // 000000008D60: D1010005 0001E505
	v_add_f32_e64 v6, v6, 1.0                                  // 000000008D68: D1010006 0001E506
	v_add_f32_e64 v7, v7, 1.0                                  // 000000008D70: D1010007 0001E507
	v_rcp_f32_e32 v4, v4                                       // 000000008D78: 7E084504
	v_rcp_f32_e32 v5, v5                                       // 000000008D7C: 7E0A4505
	v_rcp_f32_e32 v6, v6                                       // 000000008D80: 7E0C4506
	v_rcp_f32_e32 v7, v7                                       // 000000008D84: 7E0E4507
	v_mul_f32_e32 v96, v96, v4                                 // 000000008D88: 0AC00960
	v_mul_f32_e32 v97, v97, v5                                 // 000000008D8C: 0AC20B61
	v_mul_f32_e32 v98, v98, v6                                 // 000000008D90: 0AC40D62
	v_mul_f32_e32 v99, v99, v7                                 // 000000008D94: 0AC60F63
	v_mul_f32_e32 v96, v96, v136                               // 000000008D98: 0AC11160
	v_mul_f32_e32 v97, v97, v137                               // 000000008D9C: 0AC31361
	v_mul_f32_e32 v98, v98, v138                               // 000000008DA0: 0AC51562
	v_mul_f32_e32 v99, v99, v139                               // 000000008DA4: 0AC71763

0000000000008da8 <label_18ED>:
	s_cmp_eq_u32 s7, 0                                         // 000000008DA8: BF068007
	s_cbranch_scc0 label_1900                                  // 000000008DAC: BF840011
	v_and_b32_e32 v4, 15, v0                                   // 000000008DB0: 2608008F
	v_lshlrev_b32_e32 v4, 2, v4                                // 000000008DB4: 24080882
	buffer_load_dword v28, v4, s[12:15], 0 offen               // 000000008DB8: E0501000 80031C04
	v_add_u32_e32 v4, 64, v4                                   // 000000008DC0: 680808C0
	buffer_load_dword v29, v4, s[12:15], 0 offen               // 000000008DC4: E0501000 80031D04
	v_add_u32_e32 v4, 64, v4                                   // 000000008DCC: 680808C0
	buffer_load_dword v30, v4, s[12:15], 0 offen               // 000000008DD0: E0501000 80031E04
	v_add_u32_e32 v4, 64, v4                                   // 000000008DD8: 680808C0
	buffer_load_dword v31, v4, s[12:15], 0 offen               // 000000008DDC: E0501000 80031F04
	v_add_u32_e32 v4, 64, v4                                   // 000000008DE4: 680808C0
	buffer_load_dword v32, v4, s[12:15], 0 offen               // 000000008DE8: E0501000 80032004
	v_add_u32_e32 v4, 64, v4                                   // 000000008DF0: 680808C0

0000000000008df4 <label_1900>:
	v_lshlrev_b32_e32 v4, 2, v0                                // 000000008DF4: 24080082
	s_mul_i32 s60, 0x100, s7                                   // 000000008DF8: 923C07FF 00000100
	v_add_u32_e32 v105, s60, v4                                // 000000008E00: 68D2083C
	v_and_b32_e32 v4, 15, v0                                   // 000000008E04: 2608008F
	v_lshlrev_b32_e32 v106, 2, v4                              // 000000008E08: 24D40882
	s_waitcnt lgkmcnt(0)                                       // 000000008E0C: BF8CC07F
	s_barrier                                                  // 000000008E10: BF8A0000
	v_mov_b32_e32 v100, 0x358637bd                             // 000000008E14: 7EC802FF 358637BD
	v_max3_f32 v100, |v60|, |v61|, v100                        // 000000008E1C: D1D30364 05927B3C
	v_max3_f32 v100, |v62|, |v63|, v100                        // 000000008E24: D1D30364 05927F3E
	v_max3_f32 v100, |v80|, |v81|, v100                        // 000000008E2C: D1D30364 0592A350
	v_max3_f32 v100, |v82|, |v83|, v100                        // 000000008E34: D1D30364 0592A752
	ds_write_b32 v105, v100                                    // 000000008E3C: D81A0000 00006469
	s_waitcnt lgkmcnt(0)                                       // 000000008E44: BF8CC07F
	s_barrier                                                  // 000000008E48: BF8A0000
	ds_read_b32 v4, v106                                       // 000000008E4C: D86C0000 0400006A
	ds_read_b32 v5, v106 offset:64                             // 000000008E54: D86C0040 0500006A
	ds_read_b32 v6, v106 offset:128                            // 000000008E5C: D86C0080 0600006A
	ds_read_b32 v7, v106 offset:192                            // 000000008E64: D86C00C0 0700006A
	ds_read_b32 v8, v106 offset:256                            // 000000008E6C: D86C0100 0800006A
	ds_read_b32 v9, v106 offset:320                            // 000000008E74: D86C0140 0900006A
	ds_read_b32 v10, v106 offset:384                           // 000000008E7C: D86C0180 0A00006A
	ds_read_b32 v11, v106 offset:448                           // 000000008E84: D86C01C0 0B00006A
	ds_read_b32 v12, v106 offset:512                           // 000000008E8C: D86C0200 0C00006A
	ds_read_b32 v13, v106 offset:576                           // 000000008E94: D86C0240 0D00006A
	ds_read_b32 v14, v106 offset:640                           // 000000008E9C: D86C0280 0E00006A
	ds_read_b32 v15, v106 offset:704                           // 000000008EA4: D86C02C0 0F00006A
	ds_read_b32 v16, v106 offset:768                           // 000000008EAC: D86C0300 1000006A
	ds_read_b32 v17, v106 offset:832                           // 000000008EB4: D86C0340 1100006A
	ds_read_b32 v18, v106 offset:896                           // 000000008EBC: D86C0380 1200006A
	ds_read_b32 v19, v106 offset:960                           // 000000008EC4: D86C03C0 1300006A
	s_waitcnt lgkmcnt(0)                                       // 000000008ECC: BF8CC07F
	s_barrier                                                  // 000000008ED0: BF8A0000
	v_max3_f32 v100, |v4|, |v5|, v100                          // 000000008ED4: D1D30364 05920B04
	v_max3_f32 v100, |v6|, |v7|, v100                          // 000000008EDC: D1D30364 05920F06
	v_max3_f32 v100, |v8|, |v9|, v100                          // 000000008EE4: D1D30364 05921308
	v_max3_f32 v100, |v10|, |v11|, v100                        // 000000008EEC: D1D30364 0592170A
	v_max3_f32 v100, |v12|, |v13|, v100                        // 000000008EF4: D1D30364 05921B0C
	v_max3_f32 v100, |v14|, |v15|, v100                        // 000000008EFC: D1D30364 05921F0E
	v_max3_f32 v100, |v16|, |v17|, v100                        // 000000008F04: D1D30364 05922310
	v_max3_f32 v100, |v18|, |v19|, v100                        // 000000008F0C: D1D30364 05922712
	v_rcp_f32_e32 v100, v100                                   // 000000008F14: 7EC84564
	v_mov_b32_e32 v4, 0x43700000                               // 000000008F18: 7E0802FF 43700000
	v_mul_f32_e32 v100, v4, v100                               // 000000008F20: 0AC8C904
	v_mov_b32_e32 v4, v100                                     // 000000008F24: 7E080364
	v_mov_b32_e32 v5, v4                                       // 000000008F28: 7E0A0304
	v_pk_mul_f32 v[60:61], v[4:5], v[60:61]                    // 000000008F2C: D3B1403C 18027904
	v_pk_mul_f32 v[62:63], v[4:5], v[62:63]                    // 000000008F34: D3B1403E 18027D04
	v_cvt_pk_fp8_f32 v60, v60, v61                             // 000000008F3C: D2A2003C 00027B3C
	v_cvt_pk_fp8_f32 v60, v62, v63 op_sel:[0,0,1]              // 000000008F44: D2A2403C 00027F3E
	v_pk_mul_f32 v[80:81], v[4:5], v[80:81]                    // 000000008F4C: D3B14050 1802A104
	v_pk_mul_f32 v[82:83], v[4:5], v[82:83]                    // 000000008F54: D3B14052 1802A504
	v_cvt_pk_fp8_f32 v80, v80, v81                             // 000000008F5C: D2A20050 0002A350
	v_cvt_pk_fp8_f32 v80, v82, v83 op_sel:[0,0,1]              // 000000008F64: D2A24050 0002A752
	v_rcp_f32_e32 v100, v100                                   // 000000008F6C: 7EC84564
	v_mov_b32_e32 v101, 0x358637bd                             // 000000008F70: 7ECA02FF 358637BD
	v_max3_f32 v101, |v64|, |v65|, v101                        // 000000008F78: D1D30365 05968340
	v_max3_f32 v101, |v66|, |v67|, v101                        // 000000008F80: D1D30365 05968742
	v_max3_f32 v101, |v84|, |v85|, v101                        // 000000008F88: D1D30365 0596AB54
	v_max3_f32 v101, |v86|, |v87|, v101                        // 000000008F90: D1D30365 0596AF56
	ds_write_b32 v105, v101                                    // 000000008F98: D81A0000 00006569
	s_waitcnt lgkmcnt(0)                                       // 000000008FA0: BF8CC07F
	s_barrier                                                  // 000000008FA4: BF8A0000
	ds_read_b32 v4, v106                                       // 000000008FA8: D86C0000 0400006A
	ds_read_b32 v5, v106 offset:64                             // 000000008FB0: D86C0040 0500006A
	ds_read_b32 v6, v106 offset:128                            // 000000008FB8: D86C0080 0600006A
	ds_read_b32 v7, v106 offset:192                            // 000000008FC0: D86C00C0 0700006A
	ds_read_b32 v8, v106 offset:256                            // 000000008FC8: D86C0100 0800006A
	ds_read_b32 v9, v106 offset:320                            // 000000008FD0: D86C0140 0900006A
	ds_read_b32 v10, v106 offset:384                           // 000000008FD8: D86C0180 0A00006A
	ds_read_b32 v11, v106 offset:448                           // 000000008FE0: D86C01C0 0B00006A
	ds_read_b32 v12, v106 offset:512                           // 000000008FE8: D86C0200 0C00006A
	ds_read_b32 v13, v106 offset:576                           // 000000008FF0: D86C0240 0D00006A
	ds_read_b32 v14, v106 offset:640                           // 000000008FF8: D86C0280 0E00006A
	ds_read_b32 v15, v106 offset:704                           // 000000009000: D86C02C0 0F00006A
	ds_read_b32 v16, v106 offset:768                           // 000000009008: D86C0300 1000006A
	ds_read_b32 v17, v106 offset:832                           // 000000009010: D86C0340 1100006A
	ds_read_b32 v18, v106 offset:896                           // 000000009018: D86C0380 1200006A
	ds_read_b32 v19, v106 offset:960                           // 000000009020: D86C03C0 1300006A
	s_waitcnt lgkmcnt(0)                                       // 000000009028: BF8CC07F
	s_barrier                                                  // 00000000902C: BF8A0000
	v_max3_f32 v101, |v4|, |v5|, v101                          // 000000009030: D1D30365 05960B04
	v_max3_f32 v101, |v6|, |v7|, v101                          // 000000009038: D1D30365 05960F06
	v_max3_f32 v101, |v8|, |v9|, v101                          // 000000009040: D1D30365 05961308
	v_max3_f32 v101, |v10|, |v11|, v101                        // 000000009048: D1D30365 0596170A
	v_max3_f32 v101, |v12|, |v13|, v101                        // 000000009050: D1D30365 05961B0C
	v_max3_f32 v101, |v14|, |v15|, v101                        // 000000009058: D1D30365 05961F0E
	v_max3_f32 v101, |v16|, |v17|, v101                        // 000000009060: D1D30365 05962310
	v_max3_f32 v101, |v18|, |v19|, v101                        // 000000009068: D1D30365 05962712
	v_rcp_f32_e32 v101, v101                                   // 000000009070: 7ECA4565
	v_mov_b32_e32 v4, 0x43700000                               // 000000009074: 7E0802FF 43700000
	v_mul_f32_e32 v101, v4, v101                               // 00000000907C: 0ACACB04
	v_mov_b32_e32 v4, v101                                     // 000000009080: 7E080365
	v_mov_b32_e32 v5, v4                                       // 000000009084: 7E0A0304
	v_pk_mul_f32 v[64:65], v[4:5], v[64:65]                    // 000000009088: D3B14040 18028104
	v_pk_mul_f32 v[66:67], v[4:5], v[66:67]                    // 000000009090: D3B14042 18028504
	v_cvt_pk_fp8_f32 v64, v64, v65                             // 000000009098: D2A20040 00028340
	v_cvt_pk_fp8_f32 v64, v66, v67 op_sel:[0,0,1]              // 0000000090A0: D2A24040 00028742
	v_pk_mul_f32 v[84:85], v[4:5], v[84:85]                    // 0000000090A8: D3B14054 1802A904
	v_pk_mul_f32 v[86:87], v[4:5], v[86:87]                    // 0000000090B0: D3B14056 1802AD04
	v_cvt_pk_fp8_f32 v84, v84, v85                             // 0000000090B8: D2A20054 0002AB54
	v_cvt_pk_fp8_f32 v84, v86, v87 op_sel:[0,0,1]              // 0000000090C0: D2A24054 0002AF56
	v_rcp_f32_e32 v101, v101                                   // 0000000090C8: 7ECA4565
	v_mov_b32_e32 v102, 0x358637bd                             // 0000000090CC: 7ECC02FF 358637BD
	v_max3_f32 v102, |v68|, |v69|, v102                        // 0000000090D4: D1D30366 059A8B44
	v_max3_f32 v102, |v70|, |v71|, v102                        // 0000000090DC: D1D30366 059A8F46
	v_max3_f32 v102, |v88|, |v89|, v102                        // 0000000090E4: D1D30366 059AB358
	v_max3_f32 v102, |v90|, |v91|, v102                        // 0000000090EC: D1D30366 059AB75A
	ds_write_b32 v105, v102                                    // 0000000090F4: D81A0000 00006669
	s_waitcnt lgkmcnt(0)                                       // 0000000090FC: BF8CC07F
	s_barrier                                                  // 000000009100: BF8A0000
	ds_read_b32 v4, v106                                       // 000000009104: D86C0000 0400006A
	ds_read_b32 v5, v106 offset:64                             // 00000000910C: D86C0040 0500006A
	ds_read_b32 v6, v106 offset:128                            // 000000009114: D86C0080 0600006A
	ds_read_b32 v7, v106 offset:192                            // 00000000911C: D86C00C0 0700006A
	ds_read_b32 v8, v106 offset:256                            // 000000009124: D86C0100 0800006A
	ds_read_b32 v9, v106 offset:320                            // 00000000912C: D86C0140 0900006A
	ds_read_b32 v10, v106 offset:384                           // 000000009134: D86C0180 0A00006A
	ds_read_b32 v11, v106 offset:448                           // 00000000913C: D86C01C0 0B00006A
	ds_read_b32 v12, v106 offset:512                           // 000000009144: D86C0200 0C00006A
	ds_read_b32 v13, v106 offset:576                           // 00000000914C: D86C0240 0D00006A
	ds_read_b32 v14, v106 offset:640                           // 000000009154: D86C0280 0E00006A
	ds_read_b32 v15, v106 offset:704                           // 00000000915C: D86C02C0 0F00006A
	ds_read_b32 v16, v106 offset:768                           // 000000009164: D86C0300 1000006A
	ds_read_b32 v17, v106 offset:832                           // 00000000916C: D86C0340 1100006A
	ds_read_b32 v18, v106 offset:896                           // 000000009174: D86C0380 1200006A
	ds_read_b32 v19, v106 offset:960                           // 00000000917C: D86C03C0 1300006A
	s_waitcnt lgkmcnt(0)                                       // 000000009184: BF8CC07F
	s_barrier                                                  // 000000009188: BF8A0000
	v_max3_f32 v102, |v4|, |v5|, v102                          // 00000000918C: D1D30366 059A0B04
	v_max3_f32 v102, |v6|, |v7|, v102                          // 000000009194: D1D30366 059A0F06
	v_max3_f32 v102, |v8|, |v9|, v102                          // 00000000919C: D1D30366 059A1308
	v_max3_f32 v102, |v10|, |v11|, v102                        // 0000000091A4: D1D30366 059A170A
	v_max3_f32 v102, |v12|, |v13|, v102                        // 0000000091AC: D1D30366 059A1B0C
	v_max3_f32 v102, |v14|, |v15|, v102                        // 0000000091B4: D1D30366 059A1F0E
	v_max3_f32 v102, |v16|, |v17|, v102                        // 0000000091BC: D1D30366 059A2310
	v_max3_f32 v102, |v18|, |v19|, v102                        // 0000000091C4: D1D30366 059A2712
	v_rcp_f32_e32 v102, v102                                   // 0000000091CC: 7ECC4566
	v_mov_b32_e32 v4, 0x43700000                               // 0000000091D0: 7E0802FF 43700000
	v_mul_f32_e32 v102, v4, v102                               // 0000000091D8: 0ACCCD04
	v_mov_b32_e32 v4, v102                                     // 0000000091DC: 7E080366
	v_mov_b32_e32 v5, v4                                       // 0000000091E0: 7E0A0304
	v_pk_mul_f32 v[68:69], v[4:5], v[68:69]                    // 0000000091E4: D3B14044 18028904
	v_pk_mul_f32 v[70:71], v[4:5], v[70:71]                    // 0000000091EC: D3B14046 18028D04
	v_cvt_pk_fp8_f32 v68, v68, v69                             // 0000000091F4: D2A20044 00028B44
	v_cvt_pk_fp8_f32 v68, v70, v71 op_sel:[0,0,1]              // 0000000091FC: D2A24044 00028F46
	v_pk_mul_f32 v[88:89], v[4:5], v[88:89]                    // 000000009204: D3B14058 1802B104
	v_pk_mul_f32 v[90:91], v[4:5], v[90:91]                    // 00000000920C: D3B1405A 1802B504
	v_cvt_pk_fp8_f32 v88, v88, v89                             // 000000009214: D2A20058 0002B358
	v_cvt_pk_fp8_f32 v88, v90, v91 op_sel:[0,0,1]              // 00000000921C: D2A24058 0002B75A
	v_rcp_f32_e32 v102, v102                                   // 000000009224: 7ECC4566
	v_mov_b32_e32 v103, 0x358637bd                             // 000000009228: 7ECE02FF 358637BD
	v_max3_f32 v103, |v72|, |v73|, v103                        // 000000009230: D1D30367 059E9348
	v_max3_f32 v103, |v74|, |v75|, v103                        // 000000009238: D1D30367 059E974A
	v_max3_f32 v103, |v92|, |v93|, v103                        // 000000009240: D1D30367 059EBB5C
	v_max3_f32 v103, |v94|, |v95|, v103                        // 000000009248: D1D30367 059EBF5E
	ds_write_b32 v105, v103                                    // 000000009250: D81A0000 00006769
	s_waitcnt lgkmcnt(0)                                       // 000000009258: BF8CC07F
	s_barrier                                                  // 00000000925C: BF8A0000
	ds_read_b32 v4, v106                                       // 000000009260: D86C0000 0400006A
	ds_read_b32 v5, v106 offset:64                             // 000000009268: D86C0040 0500006A
	ds_read_b32 v6, v106 offset:128                            // 000000009270: D86C0080 0600006A
	ds_read_b32 v7, v106 offset:192                            // 000000009278: D86C00C0 0700006A
	ds_read_b32 v8, v106 offset:256                            // 000000009280: D86C0100 0800006A
	ds_read_b32 v9, v106 offset:320                            // 000000009288: D86C0140 0900006A
	ds_read_b32 v10, v106 offset:384                           // 000000009290: D86C0180 0A00006A
	ds_read_b32 v11, v106 offset:448                           // 000000009298: D86C01C0 0B00006A
	ds_read_b32 v12, v106 offset:512                           // 0000000092A0: D86C0200 0C00006A
	ds_read_b32 v13, v106 offset:576                           // 0000000092A8: D86C0240 0D00006A
	ds_read_b32 v14, v106 offset:640                           // 0000000092B0: D86C0280 0E00006A
	ds_read_b32 v15, v106 offset:704                           // 0000000092B8: D86C02C0 0F00006A
	ds_read_b32 v16, v106 offset:768                           // 0000000092C0: D86C0300 1000006A
	ds_read_b32 v17, v106 offset:832                           // 0000000092C8: D86C0340 1100006A
	ds_read_b32 v18, v106 offset:896                           // 0000000092D0: D86C0380 1200006A
	ds_read_b32 v19, v106 offset:960                           // 0000000092D8: D86C03C0 1300006A
	s_waitcnt lgkmcnt(0)                                       // 0000000092E0: BF8CC07F
	s_barrier                                                  // 0000000092E4: BF8A0000
	v_max3_f32 v103, |v4|, |v5|, v103                          // 0000000092E8: D1D30367 059E0B04
	v_max3_f32 v103, |v6|, |v7|, v103                          // 0000000092F0: D1D30367 059E0F06
	v_max3_f32 v103, |v8|, |v9|, v103                          // 0000000092F8: D1D30367 059E1308
	v_max3_f32 v103, |v10|, |v11|, v103                        // 000000009300: D1D30367 059E170A
	v_max3_f32 v103, |v12|, |v13|, v103                        // 000000009308: D1D30367 059E1B0C
	v_max3_f32 v103, |v14|, |v15|, v103                        // 000000009310: D1D30367 059E1F0E
	v_max3_f32 v103, |v16|, |v17|, v103                        // 000000009318: D1D30367 059E2310
	v_max3_f32 v103, |v18|, |v19|, v103                        // 000000009320: D1D30367 059E2712
	v_rcp_f32_e32 v103, v103                                   // 000000009328: 7ECE4567
	v_mov_b32_e32 v4, 0x43700000                               // 00000000932C: 7E0802FF 43700000
	v_mul_f32_e32 v103, v4, v103                               // 000000009334: 0ACECF04
	v_mov_b32_e32 v4, v103                                     // 000000009338: 7E080367
	v_mov_b32_e32 v5, v4                                       // 00000000933C: 7E0A0304
	v_pk_mul_f32 v[72:73], v[4:5], v[72:73]                    // 000000009340: D3B14048 18029104
	v_pk_mul_f32 v[74:75], v[4:5], v[74:75]                    // 000000009348: D3B1404A 18029504
	v_cvt_pk_fp8_f32 v72, v72, v73                             // 000000009350: D2A20048 00029348
	v_cvt_pk_fp8_f32 v72, v74, v75 op_sel:[0,0,1]              // 000000009358: D2A24048 0002974A
	v_pk_mul_f32 v[92:93], v[4:5], v[92:93]                    // 000000009360: D3B1405C 1802B904
	v_pk_mul_f32 v[94:95], v[4:5], v[94:95]                    // 000000009368: D3B1405E 1802BD04
	v_cvt_pk_fp8_f32 v92, v92, v93                             // 000000009370: D2A2005C 0002BB5C
	v_cvt_pk_fp8_f32 v92, v94, v95 op_sel:[0,0,1]              // 000000009378: D2A2405C 0002BF5E
	v_rcp_f32_e32 v103, v103                                   // 000000009380: 7ECE4567
	v_mov_b32_e32 v104, 0x358637bd                             // 000000009384: 7ED002FF 358637BD
	v_max3_f32 v104, |v76|, |v77|, v104                        // 00000000938C: D1D30368 05A29B4C
	v_max3_f32 v104, |v78|, |v79|, v104                        // 000000009394: D1D30368 05A29F4E
	v_max3_f32 v104, |v96|, |v97|, v104                        // 00000000939C: D1D30368 05A2C360
	v_max3_f32 v104, |v98|, |v99|, v104                        // 0000000093A4: D1D30368 05A2C762
	ds_write_b32 v105, v104                                    // 0000000093AC: D81A0000 00006869
	s_waitcnt lgkmcnt(0)                                       // 0000000093B4: BF8CC07F
	s_barrier                                                  // 0000000093B8: BF8A0000
	ds_read_b32 v4, v106                                       // 0000000093BC: D86C0000 0400006A
	ds_read_b32 v5, v106 offset:64                             // 0000000093C4: D86C0040 0500006A
	ds_read_b32 v6, v106 offset:128                            // 0000000093CC: D86C0080 0600006A
	ds_read_b32 v7, v106 offset:192                            // 0000000093D4: D86C00C0 0700006A
	ds_read_b32 v8, v106 offset:256                            // 0000000093DC: D86C0100 0800006A
	ds_read_b32 v9, v106 offset:320                            // 0000000093E4: D86C0140 0900006A
	ds_read_b32 v10, v106 offset:384                           // 0000000093EC: D86C0180 0A00006A
	ds_read_b32 v11, v106 offset:448                           // 0000000093F4: D86C01C0 0B00006A
	ds_read_b32 v12, v106 offset:512                           // 0000000093FC: D86C0200 0C00006A
	ds_read_b32 v13, v106 offset:576                           // 000000009404: D86C0240 0D00006A
	ds_read_b32 v14, v106 offset:640                           // 00000000940C: D86C0280 0E00006A
	ds_read_b32 v15, v106 offset:704                           // 000000009414: D86C02C0 0F00006A
	ds_read_b32 v16, v106 offset:768                           // 00000000941C: D86C0300 1000006A
	ds_read_b32 v17, v106 offset:832                           // 000000009424: D86C0340 1100006A
	ds_read_b32 v18, v106 offset:896                           // 00000000942C: D86C0380 1200006A
	ds_read_b32 v19, v106 offset:960                           // 000000009434: D86C03C0 1300006A
	s_waitcnt lgkmcnt(0)                                       // 00000000943C: BF8CC07F
	s_barrier                                                  // 000000009440: BF8A0000
	v_max3_f32 v104, |v4|, |v5|, v104                          // 000000009444: D1D30368 05A20B04
	v_max3_f32 v104, |v6|, |v7|, v104                          // 00000000944C: D1D30368 05A20F06
	v_max3_f32 v104, |v8|, |v9|, v104                          // 000000009454: D1D30368 05A21308
	v_max3_f32 v104, |v10|, |v11|, v104                        // 00000000945C: D1D30368 05A2170A
	v_max3_f32 v104, |v12|, |v13|, v104                        // 000000009464: D1D30368 05A21B0C
	v_max3_f32 v104, |v14|, |v15|, v104                        // 00000000946C: D1D30368 05A21F0E
	v_max3_f32 v104, |v16|, |v17|, v104                        // 000000009474: D1D30368 05A22310
	v_max3_f32 v104, |v18|, |v19|, v104                        // 00000000947C: D1D30368 05A22712
	v_rcp_f32_e32 v104, v104                                   // 000000009484: 7ED04568
	v_mov_b32_e32 v4, 0x43700000                               // 000000009488: 7E0802FF 43700000
	v_mul_f32_e32 v104, v4, v104                               // 000000009490: 0AD0D104
	v_mov_b32_e32 v4, v104                                     // 000000009494: 7E080368
	v_mov_b32_e32 v5, v4                                       // 000000009498: 7E0A0304
	v_pk_mul_f32 v[76:77], v[4:5], v[76:77]                    // 00000000949C: D3B1404C 18029904
	v_pk_mul_f32 v[78:79], v[4:5], v[78:79]                    // 0000000094A4: D3B1404E 18029D04
	v_cvt_pk_fp8_f32 v76, v76, v77                             // 0000000094AC: D2A2004C 00029B4C
	v_cvt_pk_fp8_f32 v76, v78, v79 op_sel:[0,0,1]              // 0000000094B4: D2A2404C 00029F4E
	v_pk_mul_f32 v[96:97], v[4:5], v[96:97]                    // 0000000094BC: D3B14060 1802C104
	v_pk_mul_f32 v[98:99], v[4:5], v[98:99]                    // 0000000094C4: D3B14062 1802C504
	v_cvt_pk_fp8_f32 v96, v96, v97                             // 0000000094CC: D2A20060 0002C360
	v_cvt_pk_fp8_f32 v96, v98, v99 op_sel:[0,0,1]              // 0000000094D4: D2A24060 0002C762
	v_rcp_f32_e32 v104, v104                                   // 0000000094DC: 7ED04568
	v_lshrrev_b32_e32 v4, 5, v0                                // 0000000094E0: 20080085
	v_mul_lo_u32 v20, 34, v4                                   // 0000000094E4: D2850014 000208A2
	v_and_b32_e32 v4, 31, v0                                   // 0000000094EC: 2608009F
	v_lshrrev_b32_e32 v5, 4, v4                                // 0000000094F0: 200A0884
	v_add_u32_e32 v20, v5, v20                                 // 0000000094F4: 68282905
	v_and_b32_e32 v4, 15, v0                                   // 0000000094F8: 2608008F
	v_mul_lo_u32 v5, 2, v4                                     // 0000000094FC: D2850005 00020882
	v_add_u32_e32 v20, v5, v20                                 // 000000009504: 68282905
	s_mul_i32 s60, s7, 0x44                                    // 000000009508: 923CFF07 00000044
	v_add_u32_e32 v20, s60, v20                                // 000000009510: 6828283C
	v_lshlrev_b32_e32 v20, 2, v20                              // 000000009514: 24282882
	ds_write_b32 v20, v60                                      // 000000009518: D81A0000 00003C14
	ds_write_b32 v20, v64 offset:2176                          // 000000009520: D81A0880 00004014
	ds_write_b32 v20, v68 offset:4352                          // 000000009528: D81A1100 00004414
	ds_write_b32 v20, v72 offset:6528                          // 000000009530: D81A1980 00004814
	ds_write_b32 v20, v76 offset:8704                          // 000000009538: D81A2200 00004C14
	ds_write_b32 v20, v80 offset:1088                          // 000000009540: D81A0440 00005014
	ds_write_b32 v20, v84 offset:3264                          // 000000009548: D81A0CC0 00005414
	ds_write_b32 v20, v88 offset:5440                          // 000000009550: D81A1540 00005814
	ds_write_b32 v20, v92 offset:7616                          // 000000009558: D81A1DC0 00005C14
	ds_write_b32 v20, v96 offset:9792                          // 000000009560: D81A2640 00006014
	v_lshrrev_b32_e32 v4, 5, v0                                // 000000009568: 20080085
	v_xor_b32_e32 v5, 1, v4                                    // 00000000956C: 2A0A0881
	s_mul_i32 s60, s65, 1                                      // 000000009570: 923C8141
	s_cmp_eq_u32 s88, 0                                        // 000000009574: BF068058
	s_cselect_b32 s61, 1, 8                                    // 000000009578: 853D8881
	s_mul_i32 s60, s61, s60                                    // 00000000957C: 923C3C3D
	v_readlane_b32 s82, v3, 0                                  // 000000009580: D2890052 00010103
	s_lshr_b32 s61, s82, 24                                    // 000000009588: 8F3D9852
	s_and_b32 s82, s82, 0xffffff                               // 00000000958C: 8652FF52 00FFFFFF
	s_mul_i32 s82, s82, s71                                    // 000000009594: 92524752
	s_mul_i32 s61, s60, s61                                    // 000000009598: 923D3D3C
	s_add_u32 s82, s82, s61                                    // 00000000959C: 80523D52
	v_mul_lo_u32 v6, v5, s82                                   // 0000000095A0: D2850006 0000A505
	v_readlane_b32 s82, v3, 1                                  // 0000000095A8: D2890052 00010303
	s_lshr_b32 s61, s82, 24                                    // 0000000095B0: 8F3D9852
	s_and_b32 s82, s82, 0xffffff                               // 0000000095B4: 8652FF52 00FFFFFF
	s_mul_i32 s82, s82, s71                                    // 0000000095BC: 92524752
	s_mul_i32 s61, s60, s61                                    // 0000000095C0: 923D3D3C
	s_add_u32 s82, s82, s61                                    // 0000000095C4: 80523D52
	v_mul_lo_u32 v7, v4, s82                                   // 0000000095C8: D2850007 0000A504
	v_add_u32_e32 v48, v6, v7                                  // 0000000095D0: 68600F06
	v_readlane_b32 s82, v3, 2                                  // 0000000095D4: D2890052 00010503
	s_lshr_b32 s61, s82, 24                                    // 0000000095DC: 8F3D9852
	s_and_b32 s82, s82, 0xffffff                               // 0000000095E0: 8652FF52 00FFFFFF
	s_mul_i32 s82, s82, s71                                    // 0000000095E8: 92524752
	s_mul_i32 s61, s60, s61                                    // 0000000095EC: 923D3D3C
	s_add_u32 s82, s82, s61                                    // 0000000095F0: 80523D52
	v_mul_lo_u32 v6, v5, s82                                   // 0000000095F4: D2850006 0000A505
	v_readlane_b32 s82, v3, 3                                  // 0000000095FC: D2890052 00010703
	s_lshr_b32 s61, s82, 24                                    // 000000009604: 8F3D9852
	s_and_b32 s82, s82, 0xffffff                               // 000000009608: 8652FF52 00FFFFFF
	s_mul_i32 s82, s82, s71                                    // 000000009610: 92524752
	s_mul_i32 s61, s60, s61                                    // 000000009614: 923D3D3C
	s_add_u32 s82, s82, s61                                    // 000000009618: 80523D52
	v_mul_lo_u32 v7, v4, s82                                   // 00000000961C: D2850007 0000A504
	v_add_u32_e32 v49, v6, v7                                  // 000000009624: 68620F06
	v_readlane_b32 s82, v3, 4                                  // 000000009628: D2890052 00010903
	s_lshr_b32 s61, s82, 24                                    // 000000009630: 8F3D9852
	s_and_b32 s82, s82, 0xffffff                               // 000000009634: 8652FF52 00FFFFFF
	s_mul_i32 s82, s82, s71                                    // 00000000963C: 92524752
	s_mul_i32 s61, s60, s61                                    // 000000009640: 923D3D3C
	s_add_u32 s82, s82, s61                                    // 000000009644: 80523D52
	v_mul_lo_u32 v6, v5, s82                                   // 000000009648: D2850006 0000A505
	v_readlane_b32 s82, v3, 5                                  // 000000009650: D2890052 00010B03
	s_lshr_b32 s61, s82, 24                                    // 000000009658: 8F3D9852
	s_and_b32 s82, s82, 0xffffff                               // 00000000965C: 8652FF52 00FFFFFF
	s_mul_i32 s82, s82, s71                                    // 000000009664: 92524752
	s_mul_i32 s61, s60, s61                                    // 000000009668: 923D3D3C
	s_add_u32 s82, s82, s61                                    // 00000000966C: 80523D52
	v_mul_lo_u32 v7, v4, s82                                   // 000000009670: D2850007 0000A504
	v_add_u32_e32 v50, v6, v7                                  // 000000009678: 68640F06
	v_readlane_b32 s82, v3, 6                                  // 00000000967C: D2890052 00010D03
	s_lshr_b32 s61, s82, 24                                    // 000000009684: 8F3D9852
	s_and_b32 s82, s82, 0xffffff                               // 000000009688: 8652FF52 00FFFFFF
	s_mul_i32 s82, s82, s71                                    // 000000009690: 92524752
	s_mul_i32 s61, s60, s61                                    // 000000009694: 923D3D3C
	s_add_u32 s82, s82, s61                                    // 000000009698: 80523D52
	v_mul_lo_u32 v6, v5, s82                                   // 00000000969C: D2850006 0000A505
	v_readlane_b32 s82, v3, 7                                  // 0000000096A4: D2890052 00010F03
	s_lshr_b32 s61, s82, 24                                    // 0000000096AC: 8F3D9852
	s_and_b32 s82, s82, 0xffffff                               // 0000000096B0: 8652FF52 00FFFFFF
	s_mul_i32 s82, s82, s71                                    // 0000000096B8: 92524752
	s_mul_i32 s61, s60, s61                                    // 0000000096BC: 923D3D3C
	s_add_u32 s82, s82, s61                                    // 0000000096C0: 80523D52
	v_mul_lo_u32 v7, v4, s82                                   // 0000000096C4: D2850007 0000A504
	v_add_u32_e32 v51, v6, v7                                  // 0000000096CC: 68660F06
	v_readlane_b32 s82, v3, 8                                  // 0000000096D0: D2890052 00011103
	s_lshr_b32 s61, s82, 24                                    // 0000000096D8: 8F3D9852
	s_and_b32 s82, s82, 0xffffff                               // 0000000096DC: 8652FF52 00FFFFFF
	s_mul_i32 s82, s82, s71                                    // 0000000096E4: 92524752
	s_mul_i32 s61, s60, s61                                    // 0000000096E8: 923D3D3C
	s_add_u32 s82, s82, s61                                    // 0000000096EC: 80523D52
	v_mul_lo_u32 v6, v5, s82                                   // 0000000096F0: D2850006 0000A505
	v_readlane_b32 s82, v3, 9                                  // 0000000096F8: D2890052 00011303
	s_lshr_b32 s61, s82, 24                                    // 000000009700: 8F3D9852
	s_and_b32 s82, s82, 0xffffff                               // 000000009704: 8652FF52 00FFFFFF
	s_mul_i32 s82, s82, s71                                    // 00000000970C: 92524752
	s_mul_i32 s61, s60, s61                                    // 000000009710: 923D3D3C
	s_add_u32 s82, s82, s61                                    // 000000009714: 80523D52
	v_mul_lo_u32 v7, v4, s82                                   // 000000009718: D2850007 0000A504
	v_add_u32_e32 v52, v6, v7                                  // 000000009720: 68680F06
	v_readlane_b32 s82, v3, 10                                 // 000000009724: D2890052 00011503
	s_lshr_b32 s61, s82, 24                                    // 00000000972C: 8F3D9852
	s_and_b32 s82, s82, 0xffffff                               // 000000009730: 8652FF52 00FFFFFF
	s_mul_i32 s82, s82, s71                                    // 000000009738: 92524752
	s_mul_i32 s61, s60, s61                                    // 00000000973C: 923D3D3C
	s_add_u32 s82, s82, s61                                    // 000000009740: 80523D52
	v_mul_lo_u32 v6, v5, s82                                   // 000000009744: D2850006 0000A505
	v_readlane_b32 s82, v3, 11                                 // 00000000974C: D2890052 00011703
	s_lshr_b32 s61, s82, 24                                    // 000000009754: 8F3D9852
	s_and_b32 s82, s82, 0xffffff                               // 000000009758: 8652FF52 00FFFFFF
	s_mul_i32 s82, s82, s71                                    // 000000009760: 92524752
	s_mul_i32 s61, s60, s61                                    // 000000009764: 923D3D3C
	s_add_u32 s82, s82, s61                                    // 000000009768: 80523D52
	v_mul_lo_u32 v7, v4, s82                                   // 00000000976C: D2850007 0000A504
	v_add_u32_e32 v53, v6, v7                                  // 000000009774: 686A0F06
	v_readlane_b32 s82, v3, 12                                 // 000000009778: D2890052 00011903
	s_lshr_b32 s61, s82, 24                                    // 000000009780: 8F3D9852
	s_and_b32 s82, s82, 0xffffff                               // 000000009784: 8652FF52 00FFFFFF
	s_mul_i32 s82, s82, s71                                    // 00000000978C: 92524752
	s_mul_i32 s61, s60, s61                                    // 000000009790: 923D3D3C
	s_add_u32 s82, s82, s61                                    // 000000009794: 80523D52
	v_mul_lo_u32 v6, v5, s82                                   // 000000009798: D2850006 0000A505
	v_readlane_b32 s82, v3, 13                                 // 0000000097A0: D2890052 00011B03
	s_lshr_b32 s61, s82, 24                                    // 0000000097A8: 8F3D9852
	s_and_b32 s82, s82, 0xffffff                               // 0000000097AC: 8652FF52 00FFFFFF
	s_mul_i32 s82, s82, s71                                    // 0000000097B4: 92524752
	s_mul_i32 s61, s60, s61                                    // 0000000097B8: 923D3D3C
	s_add_u32 s82, s82, s61                                    // 0000000097BC: 80523D52
	v_mul_lo_u32 v7, v4, s82                                   // 0000000097C0: D2850007 0000A504
	v_add_u32_e32 v54, v6, v7                                  // 0000000097C8: 686C0F06
	v_readlane_b32 s82, v3, 14                                 // 0000000097CC: D2890052 00011D03
	s_lshr_b32 s61, s82, 24                                    // 0000000097D4: 8F3D9852
	s_and_b32 s82, s82, 0xffffff                               // 0000000097D8: 8652FF52 00FFFFFF
	s_mul_i32 s82, s82, s71                                    // 0000000097E0: 92524752
	s_mul_i32 s61, s60, s61                                    // 0000000097E4: 923D3D3C
	s_add_u32 s82, s82, s61                                    // 0000000097E8: 80523D52
	v_mul_lo_u32 v6, v5, s82                                   // 0000000097EC: D2850006 0000A505
	v_readlane_b32 s82, v3, 15                                 // 0000000097F4: D2890052 00011F03
	s_lshr_b32 s61, s82, 24                                    // 0000000097FC: 8F3D9852
	s_and_b32 s82, s82, 0xffffff                               // 000000009800: 8652FF52 00FFFFFF
	s_mul_i32 s82, s82, s71                                    // 000000009808: 92524752
	s_mul_i32 s61, s60, s61                                    // 00000000980C: 923D3D3C
	s_add_u32 s82, s82, s61                                    // 000000009810: 80523D52
	v_mul_lo_u32 v7, v4, s82                                   // 000000009814: D2850007 0000A504
	v_add_u32_e32 v55, v6, v7                                  // 00000000981C: 686E0F06
	v_readlane_b32 s82, v3, 16                                 // 000000009820: D2890052 00012103
	s_lshr_b32 s61, s82, 24                                    // 000000009828: 8F3D9852
	s_and_b32 s82, s82, 0xffffff                               // 00000000982C: 8652FF52 00FFFFFF
	s_mul_i32 s82, s82, s71                                    // 000000009834: 92524752
	s_mul_i32 s61, s60, s61                                    // 000000009838: 923D3D3C
	s_add_u32 s82, s82, s61                                    // 00000000983C: 80523D52
	v_mul_lo_u32 v6, v5, s82                                   // 000000009840: D2850006 0000A505
	v_readlane_b32 s82, v3, 17                                 // 000000009848: D2890052 00012303
	s_lshr_b32 s61, s82, 24                                    // 000000009850: 8F3D9852
	s_and_b32 s82, s82, 0xffffff                               // 000000009854: 8652FF52 00FFFFFF
	s_mul_i32 s82, s82, s71                                    // 00000000985C: 92524752
	s_mul_i32 s61, s60, s61                                    // 000000009860: 923D3D3C
	s_add_u32 s82, s82, s61                                    // 000000009864: 80523D52
	v_mul_lo_u32 v7, v4, s82                                   // 000000009868: D2850007 0000A504
	v_add_u32_e32 v56, v6, v7                                  // 000000009870: 68700F06
	v_readlane_b32 s82, v3, 18                                 // 000000009874: D2890052 00012503
	s_lshr_b32 s61, s82, 24                                    // 00000000987C: 8F3D9852
	s_and_b32 s82, s82, 0xffffff                               // 000000009880: 8652FF52 00FFFFFF
	s_mul_i32 s82, s82, s71                                    // 000000009888: 92524752
	s_mul_i32 s61, s60, s61                                    // 00000000988C: 923D3D3C
	s_add_u32 s82, s82, s61                                    // 000000009890: 80523D52
	v_mul_lo_u32 v6, v5, s82                                   // 000000009894: D2850006 0000A505
	v_readlane_b32 s82, v3, 19                                 // 00000000989C: D2890052 00012703
	s_lshr_b32 s61, s82, 24                                    // 0000000098A4: 8F3D9852
	s_and_b32 s82, s82, 0xffffff                               // 0000000098A8: 8652FF52 00FFFFFF
	s_mul_i32 s82, s82, s71                                    // 0000000098B0: 92524752
	s_mul_i32 s61, s60, s61                                    // 0000000098B4: 923D3D3C
	s_add_u32 s82, s82, s61                                    // 0000000098B8: 80523D52
	v_mul_lo_u32 v7, v4, s82                                   // 0000000098BC: D2850007 0000A504
	v_add_u32_e32 v57, v6, v7                                  // 0000000098C4: 68720F06
	v_and_b32_e32 v4, 31, v0                                   // 0000000098C8: 2608009F
	v_lshrrev_b32_e32 v4, 1, v4                                // 0000000098CC: 20080881
	s_cmp_eq_u32 s88, 0                                        // 0000000098D0: BF068058
	s_cselect_b32 s61, 2, 4                                    // 0000000098D4: 853D8482
	v_mul_lo_u32 v4, v4, s61                                   // 0000000098D8: D2850004 00007B04
	v_and_b32_e64 v5, v0, 1                                    // 0000000098E0: D1130005 00010300
	v_add_u32_e32 v4, v4, v5                                   // 0000000098E8: 68080B04
	v_lshlrev_b32_e32 v4, 2, v4                                // 0000000098EC: 24080882
	v_add_u32_e32 v48, v48, v4                                 // 0000000098F0: 68600930
	v_add_u32_e32 v49, v49, v4                                 // 0000000098F4: 68620931
	v_add_u32_e32 v50, v50, v4                                 // 0000000098F8: 68640932
	v_add_u32_e32 v51, v51, v4                                 // 0000000098FC: 68660933
	v_add_u32_e32 v52, v52, v4                                 // 000000009900: 68680934
	v_add_u32_e32 v53, v53, v4                                 // 000000009904: 686A0935
	v_add_u32_e32 v54, v54, v4                                 // 000000009908: 686C0936
	v_add_u32_e32 v55, v55, v4                                 // 00000000990C: 686E0937
	v_add_u32_e32 v56, v56, v4                                 // 000000009910: 68700938
	v_add_u32_e32 v57, v57, v4                                 // 000000009914: 68720939
	s_waitcnt lgkmcnt(0)                                       // 000000009918: BF8CC07F
	s_barrier                                                  // 00000000991C: BF8A0000
	ds_read_b32 v60, v21                                       // 000000009920: D86C0000 3C000015
	ds_read_b32 v61, v21 offset:64                             // 000000009928: D86C0040 3D000015
	ds_read_b32 v62, v21 offset:2176                           // 000000009930: D86C0880 3E000015
	ds_read_b32 v63, v21 offset:2240                           // 000000009938: D86C08C0 3F000015
	ds_read_b32 v64, v21 offset:4352                           // 000000009940: D86C1100 40000015
	ds_read_b32 v65, v21 offset:4416                           // 000000009948: D86C1140 41000015
	ds_read_b32 v66, v21 offset:6528                           // 000000009950: D86C1980 42000015
	ds_read_b32 v67, v21 offset:6592                           // 000000009958: D86C19C0 43000015
	ds_read_b32 v68, v21 offset:8704                           // 000000009960: D86C2200 44000015
	ds_read_b32 v69, v21 offset:8768                           // 000000009968: D86C2240 45000015
	s_waitcnt lgkmcnt(0)                                       // 000000009970: BF8CC07F
	s_mov_b32 s36, -1                                          // 000000009974: BEA400C1
	s_mov_b32 s37, -1                                          // 000000009978: BEA500C1
	v_mov_b32_e32 v7, 0                                        // 00000000997C: 7E0E0280
	s_or_b32 s9, s9, 0x40000                                   // 000000009980: 8709FF09 00040000
	s_mov_b64 exec, s[36:37]                                   // 000000009988: BEFE0124
	v_mov_b32_e32 v6, v48                                      // 00000000998C: 7E0C0330
	s_mov_b64 s[60:61], 0                                      // 000000009990: BEBC0180
	v_readlane_b32 s82, v3, 0                                  // 000000009994: D2890052 00010103
	s_and_b32 s82, s82, 0xffffff                               // 00000000999C: 8652FF52 00FFFFFF
	s_cmp_lt_u32 s82, s66                                      // 0000000099A4: BF0A4252
	s_cselect_b32 s20, s36, s60                                // 0000000099A8: 85143C24
	v_readlane_b32 s82, v3, 1                                  // 0000000099AC: D2890052 00010303
	s_and_b32 s82, s82, 0xffffff                               // 0000000099B4: 8652FF52 00FFFFFF
	s_cmp_lt_u32 s82, s66                                      // 0000000099BC: BF0A4252
	s_cselect_b32 s21, s36, s60                                // 0000000099C0: 85153C24
	s_mov_b64 exec, s[20:21]                                   // 0000000099C4: BEFE0114
	buffer_store_dword v60, v6, s[8:11], 0 offen               // 0000000099C8: E0701000 80023C06
	s_mov_b64 exec, s[36:37]                                   // 0000000099D0: BEFE0124
	v_mov_b32_e32 v6, v49                                      // 0000000099D4: 7E0C0331
	s_mov_b64 s[60:61], 0                                      // 0000000099D8: BEBC0180
	v_readlane_b32 s82, v3, 2                                  // 0000000099DC: D2890052 00010503
	s_and_b32 s82, s82, 0xffffff                               // 0000000099E4: 8652FF52 00FFFFFF
	s_cmp_lt_u32 s82, s66                                      // 0000000099EC: BF0A4252
	s_cselect_b32 s20, s36, s60                                // 0000000099F0: 85143C24
	v_readlane_b32 s82, v3, 3                                  // 0000000099F4: D2890052 00010703
	s_and_b32 s82, s82, 0xffffff                               // 0000000099FC: 8652FF52 00FFFFFF
	s_cmp_lt_u32 s82, s66                                      // 000000009A04: BF0A4252
	s_cselect_b32 s21, s36, s60                                // 000000009A08: 85153C24
	s_mov_b64 exec, s[20:21]                                   // 000000009A0C: BEFE0114
	buffer_store_dword v61, v6, s[8:11], 0 offen               // 000000009A10: E0701000 80023D06
	s_mov_b64 exec, s[36:37]                                   // 000000009A18: BEFE0124
	v_mov_b32_e32 v6, v50                                      // 000000009A1C: 7E0C0332
	s_mov_b64 s[60:61], 0                                      // 000000009A20: BEBC0180
	v_readlane_b32 s82, v3, 4                                  // 000000009A24: D2890052 00010903
	s_and_b32 s82, s82, 0xffffff                               // 000000009A2C: 8652FF52 00FFFFFF
	s_cmp_lt_u32 s82, s66                                      // 000000009A34: BF0A4252
	s_cselect_b32 s20, s36, s60                                // 000000009A38: 85143C24
	v_readlane_b32 s82, v3, 5                                  // 000000009A3C: D2890052 00010B03
	s_and_b32 s82, s82, 0xffffff                               // 000000009A44: 8652FF52 00FFFFFF
	s_cmp_lt_u32 s82, s66                                      // 000000009A4C: BF0A4252
	s_cselect_b32 s21, s36, s60                                // 000000009A50: 85153C24
	s_mov_b64 exec, s[20:21]                                   // 000000009A54: BEFE0114
	buffer_store_dword v62, v6, s[8:11], 0 offen               // 000000009A58: E0701000 80023E06
	s_mov_b64 exec, s[36:37]                                   // 000000009A60: BEFE0124
	v_mov_b32_e32 v6, v51                                      // 000000009A64: 7E0C0333
	s_mov_b64 s[60:61], 0                                      // 000000009A68: BEBC0180
	v_readlane_b32 s82, v3, 6                                  // 000000009A6C: D2890052 00010D03
	s_and_b32 s82, s82, 0xffffff                               // 000000009A74: 8652FF52 00FFFFFF
	s_cmp_lt_u32 s82, s66                                      // 000000009A7C: BF0A4252
	s_cselect_b32 s20, s36, s60                                // 000000009A80: 85143C24
	v_readlane_b32 s82, v3, 7                                  // 000000009A84: D2890052 00010F03
	s_and_b32 s82, s82, 0xffffff                               // 000000009A8C: 8652FF52 00FFFFFF
	s_cmp_lt_u32 s82, s66                                      // 000000009A94: BF0A4252
	s_cselect_b32 s21, s36, s60                                // 000000009A98: 85153C24
	s_mov_b64 exec, s[20:21]                                   // 000000009A9C: BEFE0114
	buffer_store_dword v63, v6, s[8:11], 0 offen               // 000000009AA0: E0701000 80023F06
	s_mov_b64 exec, s[36:37]                                   // 000000009AA8: BEFE0124
	v_mov_b32_e32 v6, v52                                      // 000000009AAC: 7E0C0334
	s_mov_b64 s[60:61], 0                                      // 000000009AB0: BEBC0180
	v_readlane_b32 s82, v3, 8                                  // 000000009AB4: D2890052 00011103
	s_and_b32 s82, s82, 0xffffff                               // 000000009ABC: 8652FF52 00FFFFFF
	s_cmp_lt_u32 s82, s66                                      // 000000009AC4: BF0A4252
	s_cselect_b32 s20, s36, s60                                // 000000009AC8: 85143C24
	v_readlane_b32 s82, v3, 9                                  // 000000009ACC: D2890052 00011303
	s_and_b32 s82, s82, 0xffffff                               // 000000009AD4: 8652FF52 00FFFFFF
	s_cmp_lt_u32 s82, s66                                      // 000000009ADC: BF0A4252
	s_cselect_b32 s21, s36, s60                                // 000000009AE0: 85153C24
	s_mov_b64 exec, s[20:21]                                   // 000000009AE4: BEFE0114
	buffer_store_dword v64, v6, s[8:11], 0 offen               // 000000009AE8: E0701000 80024006
	s_mov_b64 exec, s[36:37]                                   // 000000009AF0: BEFE0124
	v_mov_b32_e32 v6, v53                                      // 000000009AF4: 7E0C0335
	s_mov_b64 s[60:61], 0                                      // 000000009AF8: BEBC0180
	v_readlane_b32 s82, v3, 10                                 // 000000009AFC: D2890052 00011503
	s_and_b32 s82, s82, 0xffffff                               // 000000009B04: 8652FF52 00FFFFFF
	s_cmp_lt_u32 s82, s66                                      // 000000009B0C: BF0A4252
	s_cselect_b32 s20, s36, s60                                // 000000009B10: 85143C24
	v_readlane_b32 s82, v3, 11                                 // 000000009B14: D2890052 00011703
	s_and_b32 s82, s82, 0xffffff                               // 000000009B1C: 8652FF52 00FFFFFF
	s_cmp_lt_u32 s82, s66                                      // 000000009B24: BF0A4252
	s_cselect_b32 s21, s36, s60                                // 000000009B28: 85153C24
	s_mov_b64 exec, s[20:21]                                   // 000000009B2C: BEFE0114
	buffer_store_dword v65, v6, s[8:11], 0 offen               // 000000009B30: E0701000 80024106
	s_mov_b64 exec, s[36:37]                                   // 000000009B38: BEFE0124
	v_mov_b32_e32 v6, v54                                      // 000000009B3C: 7E0C0336
	s_mov_b64 s[60:61], 0                                      // 000000009B40: BEBC0180
	v_readlane_b32 s82, v3, 12                                 // 000000009B44: D2890052 00011903
	s_and_b32 s82, s82, 0xffffff                               // 000000009B4C: 8652FF52 00FFFFFF
	s_cmp_lt_u32 s82, s66                                      // 000000009B54: BF0A4252
	s_cselect_b32 s20, s36, s60                                // 000000009B58: 85143C24
	v_readlane_b32 s82, v3, 13                                 // 000000009B5C: D2890052 00011B03
	s_and_b32 s82, s82, 0xffffff                               // 000000009B64: 8652FF52 00FFFFFF
	s_cmp_lt_u32 s82, s66                                      // 000000009B6C: BF0A4252
	s_cselect_b32 s21, s36, s60                                // 000000009B70: 85153C24
	s_mov_b64 exec, s[20:21]                                   // 000000009B74: BEFE0114
	buffer_store_dword v66, v6, s[8:11], 0 offen               // 000000009B78: E0701000 80024206
	s_mov_b64 exec, s[36:37]                                   // 000000009B80: BEFE0124
	v_mov_b32_e32 v6, v55                                      // 000000009B84: 7E0C0337
	s_mov_b64 s[60:61], 0                                      // 000000009B88: BEBC0180
	v_readlane_b32 s82, v3, 14                                 // 000000009B8C: D2890052 00011D03
	s_and_b32 s82, s82, 0xffffff                               // 000000009B94: 8652FF52 00FFFFFF
	s_cmp_lt_u32 s82, s66                                      // 000000009B9C: BF0A4252
	s_cselect_b32 s20, s36, s60                                // 000000009BA0: 85143C24
	v_readlane_b32 s82, v3, 15                                 // 000000009BA4: D2890052 00011F03
	s_and_b32 s82, s82, 0xffffff                               // 000000009BAC: 8652FF52 00FFFFFF
	s_cmp_lt_u32 s82, s66                                      // 000000009BB4: BF0A4252
	s_cselect_b32 s21, s36, s60                                // 000000009BB8: 85153C24
	s_mov_b64 exec, s[20:21]                                   // 000000009BBC: BEFE0114
	buffer_store_dword v67, v6, s[8:11], 0 offen               // 000000009BC0: E0701000 80024306
	s_mov_b64 exec, s[36:37]                                   // 000000009BC8: BEFE0124
	v_mov_b32_e32 v6, v56                                      // 000000009BCC: 7E0C0338
	s_mov_b64 s[60:61], 0                                      // 000000009BD0: BEBC0180
	v_readlane_b32 s82, v3, 16                                 // 000000009BD4: D2890052 00012103
	s_and_b32 s82, s82, 0xffffff                               // 000000009BDC: 8652FF52 00FFFFFF
	s_cmp_lt_u32 s82, s66                                      // 000000009BE4: BF0A4252
	s_cselect_b32 s20, s36, s60                                // 000000009BE8: 85143C24
	v_readlane_b32 s82, v3, 17                                 // 000000009BEC: D2890052 00012303
	s_and_b32 s82, s82, 0xffffff                               // 000000009BF4: 8652FF52 00FFFFFF
	s_cmp_lt_u32 s82, s66                                      // 000000009BFC: BF0A4252
	s_cselect_b32 s21, s36, s60                                // 000000009C00: 85153C24
	s_mov_b64 exec, s[20:21]                                   // 000000009C04: BEFE0114
	buffer_store_dword v68, v6, s[8:11], 0 offen               // 000000009C08: E0701000 80024406
	s_mov_b64 exec, s[36:37]                                   // 000000009C10: BEFE0124
	v_mov_b32_e32 v6, v57                                      // 000000009C14: 7E0C0339
	s_mov_b64 s[60:61], 0                                      // 000000009C18: BEBC0180
	v_readlane_b32 s82, v3, 18                                 // 000000009C1C: D2890052 00012503
	s_and_b32 s82, s82, 0xffffff                               // 000000009C24: 8652FF52 00FFFFFF
	s_cmp_lt_u32 s82, s66                                      // 000000009C2C: BF0A4252
	s_cselect_b32 s20, s36, s60                                // 000000009C30: 85143C24
	v_readlane_b32 s82, v3, 19                                 // 000000009C34: D2890052 00012703
	s_and_b32 s82, s82, 0xffffff                               // 000000009C3C: 8652FF52 00FFFFFF
	s_cmp_lt_u32 s82, s66                                      // 000000009C44: BF0A4252
	s_cselect_b32 s21, s36, s60                                // 000000009C48: 85153C24
	s_mov_b64 exec, s[20:21]                                   // 000000009C4C: BEFE0114
	buffer_store_dword v69, v6, s[8:11], 0 offen               // 000000009C50: E0701000 80024506
	s_mov_b64 exec, s[36:37]                                   // 000000009C58: BEFE0124
	s_cmp_eq_u32 s7, 0                                         // 000000009C5C: BF068007
	s_cbranch_scc0 label_21F8                                  // 000000009C60: BF84055C
	s_waitcnt vmcnt(10)                                        // 000000009C64: BF8C0F7A
	s_mov_b32 s8, s90                                          // 000000009C68: BE88005A
	s_mov_b32 s9, s91                                          // 000000009C6C: BE89005B
	s_mul_i32 s60, s66, s71                                    // 000000009C70: 923C4742
	s_add_u32 s8, s60, s8                                      // 000000009C74: 8008083C
	s_addc_u32 s9, 0, s9                                       // 000000009C78: 82090980
	s_lshr_b32 s71, s71, 5                                     // 000000009C7C: 8F478547
	s_mul_i32 s60, s66, s71                                    // 000000009C80: 923C4742
	s_mov_b32 s10, s60                                         // 000000009C84: BE8A003C
	s_lshr_b32 s61, s65, 5                                     // 000000009C88: 8F3D8541
	s_mul_i32 s60, s2, 4                                       // 000000009C8C: 923C8402
	v_lshrrev_b32_e32 v4, 24, v28                              // 000000009C90: 20083898
	v_mul_lo_u32 v4, s61, v4                                   // 000000009C94: D2850004 0002083D
	v_and_b32_e32 v28, 0xffffff, v28                           // 000000009C9C: 263838FF 00FFFFFF
	v_mul_lo_u32 v28, s71, v28                                 // 000000009CA4: D285001C 00023847
	v_add_u32_e32 v28, v4, v28                                 // 000000009CAC: 68383904
	v_add_u32_e32 v28, s60, v28                                // 000000009CB0: 6838383C
	v_lshrrev_b32_e32 v4, 24, v29                              // 000000009CB4: 20083A98
	v_mul_lo_u32 v4, s61, v4                                   // 000000009CB8: D2850004 0002083D
	v_and_b32_e32 v29, 0xffffff, v29                           // 000000009CC0: 263A3AFF 00FFFFFF
	v_mul_lo_u32 v29, s71, v29                                 // 000000009CC8: D285001D 00023A47
	v_add_u32_e32 v29, v4, v29                                 // 000000009CD0: 683A3B04
	v_add_u32_e32 v29, s60, v29                                // 000000009CD4: 683A3A3C
	v_lshrrev_b32_e32 v4, 24, v30                              // 000000009CD8: 20083C98
	v_mul_lo_u32 v4, s61, v4                                   // 000000009CDC: D2850004 0002083D
	v_and_b32_e32 v30, 0xffffff, v30                           // 000000009CE4: 263C3CFF 00FFFFFF
	v_mul_lo_u32 v30, s71, v30                                 // 000000009CEC: D285001E 00023C47
	v_add_u32_e32 v30, v4, v30                                 // 000000009CF4: 683C3D04
	v_add_u32_e32 v30, s60, v30                                // 000000009CF8: 683C3C3C
	v_lshrrev_b32_e32 v4, 24, v31                              // 000000009CFC: 20083E98
	v_mul_lo_u32 v4, s61, v4                                   // 000000009D00: D2850004 0002083D
	v_and_b32_e32 v31, 0xffffff, v31                           // 000000009D08: 263E3EFF 00FFFFFF
	v_mul_lo_u32 v31, s71, v31                                 // 000000009D10: D285001F 00023E47
	v_add_u32_e32 v31, v4, v31                                 // 000000009D18: 683E3F04
	v_add_u32_e32 v31, s60, v31                                // 000000009D1C: 683E3E3C
	v_lshrrev_b32_e32 v4, 24, v32                              // 000000009D20: 20084098
	v_mul_lo_u32 v4, s61, v4                                   // 000000009D24: D2850004 0002083D
	v_and_b32_e32 v32, 0xffffff, v32                           // 000000009D2C: 264040FF 00FFFFFF
	v_mul_lo_u32 v32, s71, v32                                 // 000000009D34: D2850020 00024047
	v_add_u32_e32 v32, v4, v32                                 // 000000009D3C: 68404104
	v_add_u32_e32 v32, s60, v32                                // 000000009D40: 6840403C
	s_mov_b64 exec, 0xffff                                     // 000000009D44: BEFE01FF 0000FFFF
	buffer_store_dword v100, v28, s[8:11], 0 offen             // 000000009D4C: E0701000 8002641C
	buffer_store_dword v101, v29, s[8:11], 0 offen             // 000000009D54: E0701000 8002651D
	buffer_store_dword v102, v30, s[8:11], 0 offen             // 000000009D5C: E0701000 8002661E
	buffer_store_dword v103, v31, s[8:11], 0 offen             // 000000009D64: E0701000 8002671F
	buffer_store_dword v104, v32, s[8:11], 0 offen             // 000000009D6C: E0701000 80026820
	s_mov_b64 exec, s[36:37]                                   // 000000009D74: BEFE0124
	s_branch label_21F8                                        // 000000009D78: BF820516

0000000000009d7c <label_1CE2>:
	ds_write_b64 v20, v[60:61]                                 // 000000009D7C: D89A0000 00003C14
	ds_write_b64 v20, v[64:65] offset:4352                     // 000000009D84: D89A1100 00004014
	ds_write_b64 v20, v[68:69] offset:8704                     // 000000009D8C: D89A2200 00004414
	ds_write_b64 v20, v[72:73] offset:13056                    // 000000009D94: D89A3300 00004814
	ds_write_b64 v20, v[76:77] offset:17408                    // 000000009D9C: D89A4400 00004C14
	ds_write_b64 v20, v[80:81] offset:2176                     // 000000009DA4: D89A0880 00005014
	ds_write_b64 v20, v[84:85] offset:6528                     // 000000009DAC: D89A1980 00005414
	ds_write_b64 v20, v[88:89] offset:10880                    // 000000009DB4: D89A2A80 00005814
	ds_write_b64 v20, v[92:93] offset:15232                    // 000000009DBC: D89A3B80 00005C14
	ds_write_b64 v20, v[96:97] offset:19584                    // 000000009DC4: D89A4C80 00006014
	v_lshrrev_b32_e32 v4, 5, v0                                // 000000009DCC: 20080085
	v_xor_b32_e32 v5, 1, v4                                    // 000000009DD0: 2A0A0881
	s_mul_i32 s60, s65, 1                                      // 000000009DD4: 923C8141
	s_cmp_eq_u32 s88, 0                                        // 000000009DD8: BF068058
	s_cselect_b32 s61, 1, 8                                    // 000000009DDC: 853D8881
	s_mul_i32 s60, s61, s60                                    // 000000009DE0: 923C3C3D
	v_readlane_b32 s82, v3, 0                                  // 000000009DE4: D2890052 00010103
	s_lshr_b32 s61, s82, 24                                    // 000000009DEC: 8F3D9852
	s_and_b32 s82, s82, 0xffffff                               // 000000009DF0: 8652FF52 00FFFFFF
	s_mul_i32 s82, s82, s71                                    // 000000009DF8: 92524752
	s_mul_i32 s61, s60, s61                                    // 000000009DFC: 923D3D3C
	s_add_u32 s82, s82, s61                                    // 000000009E00: 80523D52
	v_mul_lo_u32 v6, v5, s82                                   // 000000009E04: D2850006 0000A505
	v_readlane_b32 s82, v3, 1                                  // 000000009E0C: D2890052 00010303
	s_lshr_b32 s61, s82, 24                                    // 000000009E14: 8F3D9852
	s_and_b32 s82, s82, 0xffffff                               // 000000009E18: 8652FF52 00FFFFFF
	s_mul_i32 s82, s82, s71                                    // 000000009E20: 92524752
	s_mul_i32 s61, s60, s61                                    // 000000009E24: 923D3D3C
	s_add_u32 s82, s82, s61                                    // 000000009E28: 80523D52
	v_mul_lo_u32 v7, v4, s82                                   // 000000009E2C: D2850007 0000A504
	v_add_u32_e32 v48, v6, v7                                  // 000000009E34: 68600F06
	v_readlane_b32 s82, v3, 2                                  // 000000009E38: D2890052 00010503
	s_lshr_b32 s61, s82, 24                                    // 000000009E40: 8F3D9852
	s_and_b32 s82, s82, 0xffffff                               // 000000009E44: 8652FF52 00FFFFFF
	s_mul_i32 s82, s82, s71                                    // 000000009E4C: 92524752
	s_mul_i32 s61, s60, s61                                    // 000000009E50: 923D3D3C
	s_add_u32 s82, s82, s61                                    // 000000009E54: 80523D52
	v_mul_lo_u32 v6, v5, s82                                   // 000000009E58: D2850006 0000A505
	v_readlane_b32 s82, v3, 3                                  // 000000009E60: D2890052 00010703
	s_lshr_b32 s61, s82, 24                                    // 000000009E68: 8F3D9852
	s_and_b32 s82, s82, 0xffffff                               // 000000009E6C: 8652FF52 00FFFFFF
	s_mul_i32 s82, s82, s71                                    // 000000009E74: 92524752
	s_mul_i32 s61, s60, s61                                    // 000000009E78: 923D3D3C
	s_add_u32 s82, s82, s61                                    // 000000009E7C: 80523D52
	v_mul_lo_u32 v7, v4, s82                                   // 000000009E80: D2850007 0000A504
	v_add_u32_e32 v49, v6, v7                                  // 000000009E88: 68620F06
	v_readlane_b32 s82, v3, 4                                  // 000000009E8C: D2890052 00010903
	s_lshr_b32 s61, s82, 24                                    // 000000009E94: 8F3D9852
	s_and_b32 s82, s82, 0xffffff                               // 000000009E98: 8652FF52 00FFFFFF
	s_mul_i32 s82, s82, s71                                    // 000000009EA0: 92524752
	s_mul_i32 s61, s60, s61                                    // 000000009EA4: 923D3D3C
	s_add_u32 s82, s82, s61                                    // 000000009EA8: 80523D52
	v_mul_lo_u32 v6, v5, s82                                   // 000000009EAC: D2850006 0000A505
	v_readlane_b32 s82, v3, 5                                  // 000000009EB4: D2890052 00010B03
	s_lshr_b32 s61, s82, 24                                    // 000000009EBC: 8F3D9852
	s_and_b32 s82, s82, 0xffffff                               // 000000009EC0: 8652FF52 00FFFFFF
	s_mul_i32 s82, s82, s71                                    // 000000009EC8: 92524752
	s_mul_i32 s61, s60, s61                                    // 000000009ECC: 923D3D3C
	s_add_u32 s82, s82, s61                                    // 000000009ED0: 80523D52
	v_mul_lo_u32 v7, v4, s82                                   // 000000009ED4: D2850007 0000A504
	v_add_u32_e32 v50, v6, v7                                  // 000000009EDC: 68640F06
	v_readlane_b32 s82, v3, 6                                  // 000000009EE0: D2890052 00010D03
	s_lshr_b32 s61, s82, 24                                    // 000000009EE8: 8F3D9852
	s_and_b32 s82, s82, 0xffffff                               // 000000009EEC: 8652FF52 00FFFFFF
	s_mul_i32 s82, s82, s71                                    // 000000009EF4: 92524752
	s_mul_i32 s61, s60, s61                                    // 000000009EF8: 923D3D3C
	s_add_u32 s82, s82, s61                                    // 000000009EFC: 80523D52
	v_mul_lo_u32 v6, v5, s82                                   // 000000009F00: D2850006 0000A505
	v_readlane_b32 s82, v3, 7                                  // 000000009F08: D2890052 00010F03
	s_lshr_b32 s61, s82, 24                                    // 000000009F10: 8F3D9852
	s_and_b32 s82, s82, 0xffffff                               // 000000009F14: 8652FF52 00FFFFFF
	s_mul_i32 s82, s82, s71                                    // 000000009F1C: 92524752
	s_mul_i32 s61, s60, s61                                    // 000000009F20: 923D3D3C
	s_add_u32 s82, s82, s61                                    // 000000009F24: 80523D52
	v_mul_lo_u32 v7, v4, s82                                   // 000000009F28: D2850007 0000A504
	v_add_u32_e32 v51, v6, v7                                  // 000000009F30: 68660F06
	v_readlane_b32 s82, v3, 8                                  // 000000009F34: D2890052 00011103
	s_lshr_b32 s61, s82, 24                                    // 000000009F3C: 8F3D9852
	s_and_b32 s82, s82, 0xffffff                               // 000000009F40: 8652FF52 00FFFFFF
	s_mul_i32 s82, s82, s71                                    // 000000009F48: 92524752
	s_mul_i32 s61, s60, s61                                    // 000000009F4C: 923D3D3C
	s_add_u32 s82, s82, s61                                    // 000000009F50: 80523D52
	v_mul_lo_u32 v6, v5, s82                                   // 000000009F54: D2850006 0000A505
	v_readlane_b32 s82, v3, 9                                  // 000000009F5C: D2890052 00011303
	s_lshr_b32 s61, s82, 24                                    // 000000009F64: 8F3D9852
	s_and_b32 s82, s82, 0xffffff                               // 000000009F68: 8652FF52 00FFFFFF
	s_mul_i32 s82, s82, s71                                    // 000000009F70: 92524752
	s_mul_i32 s61, s60, s61                                    // 000000009F74: 923D3D3C
	s_add_u32 s82, s82, s61                                    // 000000009F78: 80523D52
	v_mul_lo_u32 v7, v4, s82                                   // 000000009F7C: D2850007 0000A504
	v_add_u32_e32 v52, v6, v7                                  // 000000009F84: 68680F06
	v_readlane_b32 s82, v3, 10                                 // 000000009F88: D2890052 00011503
	s_lshr_b32 s61, s82, 24                                    // 000000009F90: 8F3D9852
	s_and_b32 s82, s82, 0xffffff                               // 000000009F94: 8652FF52 00FFFFFF
	s_mul_i32 s82, s82, s71                                    // 000000009F9C: 92524752
	s_mul_i32 s61, s60, s61                                    // 000000009FA0: 923D3D3C
	s_add_u32 s82, s82, s61                                    // 000000009FA4: 80523D52
	v_mul_lo_u32 v6, v5, s82                                   // 000000009FA8: D2850006 0000A505
	v_readlane_b32 s82, v3, 11                                 // 000000009FB0: D2890052 00011703
	s_lshr_b32 s61, s82, 24                                    // 000000009FB8: 8F3D9852
	s_and_b32 s82, s82, 0xffffff                               // 000000009FBC: 8652FF52 00FFFFFF
	s_mul_i32 s82, s82, s71                                    // 000000009FC4: 92524752
	s_mul_i32 s61, s60, s61                                    // 000000009FC8: 923D3D3C
	s_add_u32 s82, s82, s61                                    // 000000009FCC: 80523D52
	v_mul_lo_u32 v7, v4, s82                                   // 000000009FD0: D2850007 0000A504
	v_add_u32_e32 v53, v6, v7                                  // 000000009FD8: 686A0F06
	v_readlane_b32 s82, v3, 12                                 // 000000009FDC: D2890052 00011903
	s_lshr_b32 s61, s82, 24                                    // 000000009FE4: 8F3D9852
	s_and_b32 s82, s82, 0xffffff                               // 000000009FE8: 8652FF52 00FFFFFF
	s_mul_i32 s82, s82, s71                                    // 000000009FF0: 92524752
	s_mul_i32 s61, s60, s61                                    // 000000009FF4: 923D3D3C
	s_add_u32 s82, s82, s61                                    // 000000009FF8: 80523D52
	v_mul_lo_u32 v6, v5, s82                                   // 000000009FFC: D2850006 0000A505
	v_readlane_b32 s82, v3, 13                                 // 00000000A004: D2890052 00011B03
	s_lshr_b32 s61, s82, 24                                    // 00000000A00C: 8F3D9852
	s_and_b32 s82, s82, 0xffffff                               // 00000000A010: 8652FF52 00FFFFFF
	s_mul_i32 s82, s82, s71                                    // 00000000A018: 92524752
	s_mul_i32 s61, s60, s61                                    // 00000000A01C: 923D3D3C
	s_add_u32 s82, s82, s61                                    // 00000000A020: 80523D52
	v_mul_lo_u32 v7, v4, s82                                   // 00000000A024: D2850007 0000A504
	v_add_u32_e32 v54, v6, v7                                  // 00000000A02C: 686C0F06
	v_readlane_b32 s82, v3, 14                                 // 00000000A030: D2890052 00011D03
	s_lshr_b32 s61, s82, 24                                    // 00000000A038: 8F3D9852
	s_and_b32 s82, s82, 0xffffff                               // 00000000A03C: 8652FF52 00FFFFFF
	s_mul_i32 s82, s82, s71                                    // 00000000A044: 92524752
	s_mul_i32 s61, s60, s61                                    // 00000000A048: 923D3D3C
	s_add_u32 s82, s82, s61                                    // 00000000A04C: 80523D52
	v_mul_lo_u32 v6, v5, s82                                   // 00000000A050: D2850006 0000A505
	v_readlane_b32 s82, v3, 15                                 // 00000000A058: D2890052 00011F03
	s_lshr_b32 s61, s82, 24                                    // 00000000A060: 8F3D9852
	s_and_b32 s82, s82, 0xffffff                               // 00000000A064: 8652FF52 00FFFFFF
	s_mul_i32 s82, s82, s71                                    // 00000000A06C: 92524752
	s_mul_i32 s61, s60, s61                                    // 00000000A070: 923D3D3C
	s_add_u32 s82, s82, s61                                    // 00000000A074: 80523D52
	v_mul_lo_u32 v7, v4, s82                                   // 00000000A078: D2850007 0000A504
	v_add_u32_e32 v55, v6, v7                                  // 00000000A080: 686E0F06
	v_readlane_b32 s82, v3, 16                                 // 00000000A084: D2890052 00012103
	s_lshr_b32 s61, s82, 24                                    // 00000000A08C: 8F3D9852
	s_and_b32 s82, s82, 0xffffff                               // 00000000A090: 8652FF52 00FFFFFF
	s_mul_i32 s82, s82, s71                                    // 00000000A098: 92524752
	s_mul_i32 s61, s60, s61                                    // 00000000A09C: 923D3D3C
	s_add_u32 s82, s82, s61                                    // 00000000A0A0: 80523D52
	v_mul_lo_u32 v6, v5, s82                                   // 00000000A0A4: D2850006 0000A505
	v_readlane_b32 s82, v3, 17                                 // 00000000A0AC: D2890052 00012303
	s_lshr_b32 s61, s82, 24                                    // 00000000A0B4: 8F3D9852
	s_and_b32 s82, s82, 0xffffff                               // 00000000A0B8: 8652FF52 00FFFFFF
	s_mul_i32 s82, s82, s71                                    // 00000000A0C0: 92524752
	s_mul_i32 s61, s60, s61                                    // 00000000A0C4: 923D3D3C
	s_add_u32 s82, s82, s61                                    // 00000000A0C8: 80523D52
	v_mul_lo_u32 v7, v4, s82                                   // 00000000A0CC: D2850007 0000A504
	v_add_u32_e32 v56, v6, v7                                  // 00000000A0D4: 68700F06
	v_readlane_b32 s82, v3, 18                                 // 00000000A0D8: D2890052 00012503
	s_lshr_b32 s61, s82, 24                                    // 00000000A0E0: 8F3D9852
	s_and_b32 s82, s82, 0xffffff                               // 00000000A0E4: 8652FF52 00FFFFFF
	s_mul_i32 s82, s82, s71                                    // 00000000A0EC: 92524752
	s_mul_i32 s61, s60, s61                                    // 00000000A0F0: 923D3D3C
	s_add_u32 s82, s82, s61                                    // 00000000A0F4: 80523D52
	v_mul_lo_u32 v6, v5, s82                                   // 00000000A0F8: D2850006 0000A505
	v_readlane_b32 s82, v3, 19                                 // 00000000A100: D2890052 00012703
	s_lshr_b32 s61, s82, 24                                    // 00000000A108: 8F3D9852
	s_and_b32 s82, s82, 0xffffff                               // 00000000A10C: 8652FF52 00FFFFFF
	s_mul_i32 s82, s82, s71                                    // 00000000A114: 92524752
	s_mul_i32 s61, s60, s61                                    // 00000000A118: 923D3D3C
	s_add_u32 s82, s82, s61                                    // 00000000A11C: 80523D52
	v_mul_lo_u32 v7, v4, s82                                   // 00000000A120: D2850007 0000A504
	v_add_u32_e32 v57, v6, v7                                  // 00000000A128: 68720F06
	v_and_b32_e32 v4, 31, v0                                   // 00000000A12C: 2608009F
	v_lshrrev_b32_e32 v4, 1, v4                                // 00000000A130: 20080881
	s_cmp_eq_u32 s88, 0                                        // 00000000A134: BF068058
	s_cselect_b32 s61, 2, 4                                    // 00000000A138: 853D8482
	v_mul_lo_u32 v4, v4, s61                                   // 00000000A13C: D2850004 00007B04
	v_and_b32_e64 v5, v0, 1                                    // 00000000A144: D1130005 00010300
	v_add_u32_e32 v4, v4, v5                                   // 00000000A14C: 68080B04
	v_lshlrev_b32_e32 v4, 2, v4                                // 00000000A150: 24080882
	v_add_u32_e32 v48, v48, v4                                 // 00000000A154: 68600930
	v_add_u32_e32 v49, v49, v4                                 // 00000000A158: 68620931
	v_add_u32_e32 v50, v50, v4                                 // 00000000A15C: 68640932
	v_add_u32_e32 v51, v51, v4                                 // 00000000A160: 68660933
	v_add_u32_e32 v52, v52, v4                                 // 00000000A164: 68680934
	v_add_u32_e32 v53, v53, v4                                 // 00000000A168: 686A0935
	v_add_u32_e32 v54, v54, v4                                 // 00000000A16C: 686C0936
	v_add_u32_e32 v55, v55, v4                                 // 00000000A170: 686E0937
	v_add_u32_e32 v56, v56, v4                                 // 00000000A174: 68700938
	v_add_u32_e32 v57, v57, v4                                 // 00000000A178: 68720939
	s_waitcnt lgkmcnt(0)                                       // 00000000A17C: BF8CC07F
	s_barrier                                                  // 00000000A180: BF8A0000
	ds_read_b32 v60, v21                                       // 00000000A184: D86C0000 3C000015
	ds_read_b32 v61, v21 offset:64                             // 00000000A18C: D86C0040 3D000015
	ds_read_b32 v64, v21 offset:2176                           // 00000000A194: D86C0880 40000015
	ds_read_b32 v65, v21 offset:2240                           // 00000000A19C: D86C08C0 41000015
	ds_read_b32 v68, v21 offset:4352                           // 00000000A1A4: D86C1100 44000015
	ds_read_b32 v69, v21 offset:4416                           // 00000000A1AC: D86C1140 45000015
	ds_read_b32 v72, v21 offset:6528                           // 00000000A1B4: D86C1980 48000015
	ds_read_b32 v73, v21 offset:6592                           // 00000000A1BC: D86C19C0 49000015
	ds_read_b32 v76, v21 offset:8704                           // 00000000A1C4: D86C2200 4C000015
	ds_read_b32 v77, v21 offset:8768                           // 00000000A1CC: D86C2240 4D000015
	ds_read_b32 v80, v21 offset:10880                          // 00000000A1D4: D86C2A80 50000015
	ds_read_b32 v81, v21 offset:10944                          // 00000000A1DC: D86C2AC0 51000015
	ds_read_b32 v84, v21 offset:13056                          // 00000000A1E4: D86C3300 54000015
	ds_read_b32 v85, v21 offset:13120                          // 00000000A1EC: D86C3340 55000015
	ds_read_b32 v88, v21 offset:15232                          // 00000000A1F4: D86C3B80 58000015
	ds_read_b32 v89, v21 offset:15296                          // 00000000A1FC: D86C3BC0 59000015
	ds_read_b32 v92, v21 offset:17408                          // 00000000A204: D86C4400 5C000015
	ds_read_b32 v93, v21 offset:17472                          // 00000000A20C: D86C4440 5D000015
	ds_read_b32 v96, v21 offset:19584                          // 00000000A214: D86C4C80 60000015
	ds_read_b32 v97, v21 offset:19648                          // 00000000A21C: D86C4CC0 61000015
	s_waitcnt lgkmcnt(0)                                       // 00000000A224: BF8CC07F
	s_mov_b32 s36, -1                                          // 00000000A228: BEA400C1
	s_mov_b32 s37, -1                                          // 00000000A22C: BEA500C1
	v_mov_b32_e32 v7, 0                                        // 00000000A230: 7E0E0280
	s_mov_b64 exec, s[36:37]                                   // 00000000A234: BEFE0124
	v_mov_b32_e32 v6, v48                                      // 00000000A238: 7E0C0330
	s_mov_b64 s[60:61], 0                                      // 00000000A23C: BEBC0180
	v_readlane_b32 s82, v3, 0                                  // 00000000A240: D2890052 00010103
	s_and_b32 s82, s82, 0xffffff                               // 00000000A248: 8652FF52 00FFFFFF
	s_cmp_lt_u32 s82, s66                                      // 00000000A250: BF0A4252
	s_cselect_b32 s20, s36, s60                                // 00000000A254: 85143C24
	v_readlane_b32 s82, v3, 1                                  // 00000000A258: D2890052 00010303
	s_and_b32 s82, s82, 0xffffff                               // 00000000A260: 8652FF52 00FFFFFF
	s_cmp_lt_u32 s82, s66                                      // 00000000A268: BF0A4252
	s_cselect_b32 s21, s36, s60                                // 00000000A26C: 85153C24
	s_mov_b64 exec, s[20:21]                                   // 00000000A270: BEFE0114
	global_atomic_add_f32 v6, v60, s[8:9]                      // 00000000A274: DD348000 00083C06
	global_atomic_add_f32 v6, v64, s[8:9] offset:256           // 00000000A27C: DD348100 00084006
	s_mov_b64 exec, s[36:37]                                   // 00000000A284: BEFE0124
	v_mov_b32_e32 v6, v49                                      // 00000000A288: 7E0C0331
	s_mov_b64 s[60:61], 0                                      // 00000000A28C: BEBC0180
	v_readlane_b32 s82, v3, 2                                  // 00000000A290: D2890052 00010503
	s_and_b32 s82, s82, 0xffffff                               // 00000000A298: 8652FF52 00FFFFFF
	s_cmp_lt_u32 s82, s66                                      // 00000000A2A0: BF0A4252
	s_cselect_b32 s20, s36, s60                                // 00000000A2A4: 85143C24
	v_readlane_b32 s82, v3, 3                                  // 00000000A2A8: D2890052 00010703
	s_and_b32 s82, s82, 0xffffff                               // 00000000A2B0: 8652FF52 00FFFFFF
	s_cmp_lt_u32 s82, s66                                      // 00000000A2B8: BF0A4252
	s_cselect_b32 s21, s36, s60                                // 00000000A2BC: 85153C24
	s_mov_b64 exec, s[20:21]                                   // 00000000A2C0: BEFE0114
	global_atomic_add_f32 v6, v61, s[8:9]                      // 00000000A2C4: DD348000 00083D06
	global_atomic_add_f32 v6, v65, s[8:9] offset:256           // 00000000A2CC: DD348100 00084106
	s_mov_b64 exec, s[36:37]                                   // 00000000A2D4: BEFE0124
	v_mov_b32_e32 v6, v50                                      // 00000000A2D8: 7E0C0332
	s_mov_b64 s[60:61], 0                                      // 00000000A2DC: BEBC0180
	v_readlane_b32 s82, v3, 4                                  // 00000000A2E0: D2890052 00010903
	s_and_b32 s82, s82, 0xffffff                               // 00000000A2E8: 8652FF52 00FFFFFF
	s_cmp_lt_u32 s82, s66                                      // 00000000A2F0: BF0A4252
	s_cselect_b32 s20, s36, s60                                // 00000000A2F4: 85143C24
	v_readlane_b32 s82, v3, 5                                  // 00000000A2F8: D2890052 00010B03
	s_and_b32 s82, s82, 0xffffff                               // 00000000A300: 8652FF52 00FFFFFF
	s_cmp_lt_u32 s82, s66                                      // 00000000A308: BF0A4252
	s_cselect_b32 s21, s36, s60                                // 00000000A30C: 85153C24
	s_mov_b64 exec, s[20:21]                                   // 00000000A310: BEFE0114
	global_atomic_add_f32 v6, v68, s[8:9]                      // 00000000A314: DD348000 00084406
	global_atomic_add_f32 v6, v72, s[8:9] offset:256           // 00000000A31C: DD348100 00084806
	s_mov_b64 exec, s[36:37]                                   // 00000000A324: BEFE0124
	v_mov_b32_e32 v6, v51                                      // 00000000A328: 7E0C0333
	s_mov_b64 s[60:61], 0                                      // 00000000A32C: BEBC0180
	v_readlane_b32 s82, v3, 6                                  // 00000000A330: D2890052 00010D03
	s_and_b32 s82, s82, 0xffffff                               // 00000000A338: 8652FF52 00FFFFFF
	s_cmp_lt_u32 s82, s66                                      // 00000000A340: BF0A4252
	s_cselect_b32 s20, s36, s60                                // 00000000A344: 85143C24
	v_readlane_b32 s82, v3, 7                                  // 00000000A348: D2890052 00010F03
	s_and_b32 s82, s82, 0xffffff                               // 00000000A350: 8652FF52 00FFFFFF
	s_cmp_lt_u32 s82, s66                                      // 00000000A358: BF0A4252
	s_cselect_b32 s21, s36, s60                                // 00000000A35C: 85153C24
	s_mov_b64 exec, s[20:21]                                   // 00000000A360: BEFE0114
	global_atomic_add_f32 v6, v69, s[8:9]                      // 00000000A364: DD348000 00084506
	global_atomic_add_f32 v6, v73, s[8:9] offset:256           // 00000000A36C: DD348100 00084906
	s_mov_b64 exec, s[36:37]                                   // 00000000A374: BEFE0124
	v_mov_b32_e32 v6, v52                                      // 00000000A378: 7E0C0334
	s_mov_b64 s[60:61], 0                                      // 00000000A37C: BEBC0180
	v_readlane_b32 s82, v3, 8                                  // 00000000A380: D2890052 00011103
	s_and_b32 s82, s82, 0xffffff                               // 00000000A388: 8652FF52 00FFFFFF
	s_cmp_lt_u32 s82, s66                                      // 00000000A390: BF0A4252
	s_cselect_b32 s20, s36, s60                                // 00000000A394: 85143C24
	v_readlane_b32 s82, v3, 9                                  // 00000000A398: D2890052 00011303
	s_and_b32 s82, s82, 0xffffff                               // 00000000A3A0: 8652FF52 00FFFFFF
	s_cmp_lt_u32 s82, s66                                      // 00000000A3A8: BF0A4252
	s_cselect_b32 s21, s36, s60                                // 00000000A3AC: 85153C24
	s_mov_b64 exec, s[20:21]                                   // 00000000A3B0: BEFE0114
	global_atomic_add_f32 v6, v76, s[8:9]                      // 00000000A3B4: DD348000 00084C06
	global_atomic_add_f32 v6, v80, s[8:9] offset:256           // 00000000A3BC: DD348100 00085006
	s_mov_b64 exec, s[36:37]                                   // 00000000A3C4: BEFE0124
	v_mov_b32_e32 v6, v53                                      // 00000000A3C8: 7E0C0335
	s_mov_b64 s[60:61], 0                                      // 00000000A3CC: BEBC0180
	v_readlane_b32 s82, v3, 10                                 // 00000000A3D0: D2890052 00011503
	s_and_b32 s82, s82, 0xffffff                               // 00000000A3D8: 8652FF52 00FFFFFF
	s_cmp_lt_u32 s82, s66                                      // 00000000A3E0: BF0A4252
	s_cselect_b32 s20, s36, s60                                // 00000000A3E4: 85143C24
	v_readlane_b32 s82, v3, 11                                 // 00000000A3E8: D2890052 00011703
	s_and_b32 s82, s82, 0xffffff                               // 00000000A3F0: 8652FF52 00FFFFFF
	s_cmp_lt_u32 s82, s66                                      // 00000000A3F8: BF0A4252
	s_cselect_b32 s21, s36, s60                                // 00000000A3FC: 85153C24
	s_mov_b64 exec, s[20:21]                                   // 00000000A400: BEFE0114
	global_atomic_add_f32 v6, v77, s[8:9]                      // 00000000A404: DD348000 00084D06
	global_atomic_add_f32 v6, v81, s[8:9] offset:256           // 00000000A40C: DD348100 00085106
	s_mov_b64 exec, s[36:37]                                   // 00000000A414: BEFE0124
	v_mov_b32_e32 v6, v54                                      // 00000000A418: 7E0C0336
	s_mov_b64 s[60:61], 0                                      // 00000000A41C: BEBC0180
	v_readlane_b32 s82, v3, 12                                 // 00000000A420: D2890052 00011903
	s_and_b32 s82, s82, 0xffffff                               // 00000000A428: 8652FF52 00FFFFFF
	s_cmp_lt_u32 s82, s66                                      // 00000000A430: BF0A4252
	s_cselect_b32 s20, s36, s60                                // 00000000A434: 85143C24
	v_readlane_b32 s82, v3, 13                                 // 00000000A438: D2890052 00011B03
	s_and_b32 s82, s82, 0xffffff                               // 00000000A440: 8652FF52 00FFFFFF
	s_cmp_lt_u32 s82, s66                                      // 00000000A448: BF0A4252
	s_cselect_b32 s21, s36, s60                                // 00000000A44C: 85153C24
	s_mov_b64 exec, s[20:21]                                   // 00000000A450: BEFE0114
	global_atomic_add_f32 v6, v84, s[8:9]                      // 00000000A454: DD348000 00085406
	global_atomic_add_f32 v6, v88, s[8:9] offset:256           // 00000000A45C: DD348100 00085806
	s_mov_b64 exec, s[36:37]                                   // 00000000A464: BEFE0124
	v_mov_b32_e32 v6, v55                                      // 00000000A468: 7E0C0337
	s_mov_b64 s[60:61], 0                                      // 00000000A46C: BEBC0180
	v_readlane_b32 s82, v3, 14                                 // 00000000A470: D2890052 00011D03
	s_and_b32 s82, s82, 0xffffff                               // 00000000A478: 8652FF52 00FFFFFF
	s_cmp_lt_u32 s82, s66                                      // 00000000A480: BF0A4252
	s_cselect_b32 s20, s36, s60                                // 00000000A484: 85143C24
	v_readlane_b32 s82, v3, 15                                 // 00000000A488: D2890052 00011F03
	s_and_b32 s82, s82, 0xffffff                               // 00000000A490: 8652FF52 00FFFFFF
	s_cmp_lt_u32 s82, s66                                      // 00000000A498: BF0A4252
	s_cselect_b32 s21, s36, s60                                // 00000000A49C: 85153C24
	s_mov_b64 exec, s[20:21]                                   // 00000000A4A0: BEFE0114
	global_atomic_add_f32 v6, v85, s[8:9]                      // 00000000A4A4: DD348000 00085506
	global_atomic_add_f32 v6, v89, s[8:9] offset:256           // 00000000A4AC: DD348100 00085906
	s_mov_b64 exec, s[36:37]                                   // 00000000A4B4: BEFE0124
	v_mov_b32_e32 v6, v56                                      // 00000000A4B8: 7E0C0338
	s_mov_b64 s[60:61], 0                                      // 00000000A4BC: BEBC0180
	v_readlane_b32 s82, v3, 16                                 // 00000000A4C0: D2890052 00012103
	s_and_b32 s82, s82, 0xffffff                               // 00000000A4C8: 8652FF52 00FFFFFF
	s_cmp_lt_u32 s82, s66                                      // 00000000A4D0: BF0A4252
	s_cselect_b32 s20, s36, s60                                // 00000000A4D4: 85143C24
	v_readlane_b32 s82, v3, 17                                 // 00000000A4D8: D2890052 00012303
	s_and_b32 s82, s82, 0xffffff                               // 00000000A4E0: 8652FF52 00FFFFFF
	s_cmp_lt_u32 s82, s66                                      // 00000000A4E8: BF0A4252
	s_cselect_b32 s21, s36, s60                                // 00000000A4EC: 85153C24
	s_mov_b64 exec, s[20:21]                                   // 00000000A4F0: BEFE0114
	global_atomic_add_f32 v6, v92, s[8:9]                      // 00000000A4F4: DD348000 00085C06
	global_atomic_add_f32 v6, v96, s[8:9] offset:256           // 00000000A4FC: DD348100 00086006
	s_mov_b64 exec, s[36:37]                                   // 00000000A504: BEFE0124
	v_mov_b32_e32 v6, v57                                      // 00000000A508: 7E0C0339
	s_mov_b64 s[60:61], 0                                      // 00000000A50C: BEBC0180
	v_readlane_b32 s82, v3, 18                                 // 00000000A510: D2890052 00012503
	s_and_b32 s82, s82, 0xffffff                               // 00000000A518: 8652FF52 00FFFFFF
	s_cmp_lt_u32 s82, s66                                      // 00000000A520: BF0A4252
	s_cselect_b32 s20, s36, s60                                // 00000000A524: 85143C24
	v_readlane_b32 s82, v3, 19                                 // 00000000A528: D2890052 00012703
	s_and_b32 s82, s82, 0xffffff                               // 00000000A530: 8652FF52 00FFFFFF
	s_cmp_lt_u32 s82, s66                                      // 00000000A538: BF0A4252
	s_cselect_b32 s21, s36, s60                                // 00000000A53C: 85153C24
	s_mov_b64 exec, s[20:21]                                   // 00000000A540: BEFE0114
	global_atomic_add_f32 v6, v93, s[8:9]                      // 00000000A544: DD348000 00085D06
	global_atomic_add_f32 v6, v97, s[8:9] offset:256           // 00000000A54C: DD348100 00086106
	s_mov_b64 exec, s[36:37]                                   // 00000000A554: BEFE0124
	ds_write_b64 v20, v[62:63]                                 // 00000000A558: D89A0000 00003E14
	ds_write_b64 v20, v[66:67] offset:4352                     // 00000000A560: D89A1100 00004214
	ds_write_b64 v20, v[70:71] offset:8704                     // 00000000A568: D89A2200 00004614
	ds_write_b64 v20, v[74:75] offset:13056                    // 00000000A570: D89A3300 00004A14
	ds_write_b64 v20, v[78:79] offset:17408                    // 00000000A578: D89A4400 00004E14
	ds_write_b64 v20, v[82:83] offset:2176                     // 00000000A580: D89A0880 00005214
	ds_write_b64 v20, v[86:87] offset:6528                     // 00000000A588: D89A1980 00005614
	ds_write_b64 v20, v[90:91] offset:10880                    // 00000000A590: D89A2A80 00005A14
	ds_write_b64 v20, v[94:95] offset:15232                    // 00000000A598: D89A3B80 00005E14
	ds_write_b64 v20, v[98:99] offset:19584                    // 00000000A5A0: D89A4C80 00006214
	s_waitcnt lgkmcnt(0)                                       // 00000000A5A8: BF8CC07F
	s_barrier                                                  // 00000000A5AC: BF8A0000
	ds_read_b32 v62, v21                                       // 00000000A5B0: D86C0000 3E000015
	ds_read_b32 v63, v21 offset:64                             // 00000000A5B8: D86C0040 3F000015
	ds_read_b32 v66, v21 offset:2176                           // 00000000A5C0: D86C0880 42000015
	ds_read_b32 v67, v21 offset:2240                           // 00000000A5C8: D86C08C0 43000015
	ds_read_b32 v70, v21 offset:4352                           // 00000000A5D0: D86C1100 46000015
	ds_read_b32 v71, v21 offset:4416                           // 00000000A5D8: D86C1140 47000015
	ds_read_b32 v74, v21 offset:6528                           // 00000000A5E0: D86C1980 4A000015
	ds_read_b32 v75, v21 offset:6592                           // 00000000A5E8: D86C19C0 4B000015
	ds_read_b32 v78, v21 offset:8704                           // 00000000A5F0: D86C2200 4E000015
	ds_read_b32 v79, v21 offset:8768                           // 00000000A5F8: D86C2240 4F000015
	ds_read_b32 v82, v21 offset:10880                          // 00000000A600: D86C2A80 52000015
	ds_read_b32 v83, v21 offset:10944                          // 00000000A608: D86C2AC0 53000015
	ds_read_b32 v86, v21 offset:13056                          // 00000000A610: D86C3300 56000015
	ds_read_b32 v87, v21 offset:13120                          // 00000000A618: D86C3340 57000015
	ds_read_b32 v90, v21 offset:15232                          // 00000000A620: D86C3B80 5A000015
	ds_read_b32 v91, v21 offset:15296                          // 00000000A628: D86C3BC0 5B000015
	ds_read_b32 v94, v21 offset:17408                          // 00000000A630: D86C4400 5E000015
	ds_read_b32 v95, v21 offset:17472                          // 00000000A638: D86C4440 5F000015
	ds_read_b32 v98, v21 offset:19584                          // 00000000A640: D86C4C80 62000015
	ds_read_b32 v99, v21 offset:19648                          // 00000000A648: D86C4CC0 63000015
	s_waitcnt lgkmcnt(0)                                       // 00000000A650: BF8CC07F
	v_mov_b32_e32 v7, 0                                        // 00000000A654: 7E0E0280
	s_mov_b64 exec, s[36:37]                                   // 00000000A658: BEFE0124
	v_mov_b32_e32 v6, v48                                      // 00000000A65C: 7E0C0330
	s_mov_b64 s[60:61], 0                                      // 00000000A660: BEBC0180
	v_readlane_b32 s82, v3, 0                                  // 00000000A664: D2890052 00010103
	s_and_b32 s82, s82, 0xffffff                               // 00000000A66C: 8652FF52 00FFFFFF
	s_cmp_lt_u32 s82, s66                                      // 00000000A674: BF0A4252
	s_cselect_b32 s20, s36, s60                                // 00000000A678: 85143C24
	v_readlane_b32 s82, v3, 1                                  // 00000000A67C: D2890052 00010303
	s_and_b32 s82, s82, 0xffffff                               // 00000000A684: 8652FF52 00FFFFFF
	s_cmp_lt_u32 s82, s66                                      // 00000000A68C: BF0A4252
	s_cselect_b32 s21, s36, s60                                // 00000000A690: 85153C24
	s_mov_b64 exec, s[20:21]                                   // 00000000A694: BEFE0114
	global_atomic_add_f32 v6, v62, s[8:9] offset:8             // 00000000A698: DD348008 00083E06
	global_atomic_add_f32 v6, v66, s[8:9] offset:264           // 00000000A6A0: DD348108 00084206
	s_mov_b64 exec, s[36:37]                                   // 00000000A6A8: BEFE0124
	v_mov_b32_e32 v6, v49                                      // 00000000A6AC: 7E0C0331
	s_mov_b64 s[60:61], 0                                      // 00000000A6B0: BEBC0180
	v_readlane_b32 s82, v3, 2                                  // 00000000A6B4: D2890052 00010503
	s_and_b32 s82, s82, 0xffffff                               // 00000000A6BC: 8652FF52 00FFFFFF
	s_cmp_lt_u32 s82, s66                                      // 00000000A6C4: BF0A4252
	s_cselect_b32 s20, s36, s60                                // 00000000A6C8: 85143C24
	v_readlane_b32 s82, v3, 3                                  // 00000000A6CC: D2890052 00010703
	s_and_b32 s82, s82, 0xffffff                               // 00000000A6D4: 8652FF52 00FFFFFF
	s_cmp_lt_u32 s82, s66                                      // 00000000A6DC: BF0A4252
	s_cselect_b32 s21, s36, s60                                // 00000000A6E0: 85153C24
	s_mov_b64 exec, s[20:21]                                   // 00000000A6E4: BEFE0114
	global_atomic_add_f32 v6, v63, s[8:9] offset:8             // 00000000A6E8: DD348008 00083F06
	global_atomic_add_f32 v6, v67, s[8:9] offset:264           // 00000000A6F0: DD348108 00084306
	s_mov_b64 exec, s[36:37]                                   // 00000000A6F8: BEFE0124
	v_mov_b32_e32 v6, v50                                      // 00000000A6FC: 7E0C0332
	s_mov_b64 s[60:61], 0                                      // 00000000A700: BEBC0180
	v_readlane_b32 s82, v3, 4                                  // 00000000A704: D2890052 00010903
	s_and_b32 s82, s82, 0xffffff                               // 00000000A70C: 8652FF52 00FFFFFF
	s_cmp_lt_u32 s82, s66                                      // 00000000A714: BF0A4252
	s_cselect_b32 s20, s36, s60                                // 00000000A718: 85143C24
	v_readlane_b32 s82, v3, 5                                  // 00000000A71C: D2890052 00010B03
	s_and_b32 s82, s82, 0xffffff                               // 00000000A724: 8652FF52 00FFFFFF
	s_cmp_lt_u32 s82, s66                                      // 00000000A72C: BF0A4252
	s_cselect_b32 s21, s36, s60                                // 00000000A730: 85153C24
	s_mov_b64 exec, s[20:21]                                   // 00000000A734: BEFE0114
	global_atomic_add_f32 v6, v70, s[8:9] offset:8             // 00000000A738: DD348008 00084606
	global_atomic_add_f32 v6, v74, s[8:9] offset:264           // 00000000A740: DD348108 00084A06
	s_mov_b64 exec, s[36:37]                                   // 00000000A748: BEFE0124
	v_mov_b32_e32 v6, v51                                      // 00000000A74C: 7E0C0333
	s_mov_b64 s[60:61], 0                                      // 00000000A750: BEBC0180
	v_readlane_b32 s82, v3, 6                                  // 00000000A754: D2890052 00010D03
	s_and_b32 s82, s82, 0xffffff                               // 00000000A75C: 8652FF52 00FFFFFF
	s_cmp_lt_u32 s82, s66                                      // 00000000A764: BF0A4252
	s_cselect_b32 s20, s36, s60                                // 00000000A768: 85143C24
	v_readlane_b32 s82, v3, 7                                  // 00000000A76C: D2890052 00010F03
	s_and_b32 s82, s82, 0xffffff                               // 00000000A774: 8652FF52 00FFFFFF
	s_cmp_lt_u32 s82, s66                                      // 00000000A77C: BF0A4252
	s_cselect_b32 s21, s36, s60                                // 00000000A780: 85153C24
	s_mov_b64 exec, s[20:21]                                   // 00000000A784: BEFE0114
	global_atomic_add_f32 v6, v71, s[8:9] offset:8             // 00000000A788: DD348008 00084706
	global_atomic_add_f32 v6, v75, s[8:9] offset:264           // 00000000A790: DD348108 00084B06
	s_mov_b64 exec, s[36:37]                                   // 00000000A798: BEFE0124
	v_mov_b32_e32 v6, v52                                      // 00000000A79C: 7E0C0334
	s_mov_b64 s[60:61], 0                                      // 00000000A7A0: BEBC0180
	v_readlane_b32 s82, v3, 8                                  // 00000000A7A4: D2890052 00011103
	s_and_b32 s82, s82, 0xffffff                               // 00000000A7AC: 8652FF52 00FFFFFF
	s_cmp_lt_u32 s82, s66                                      // 00000000A7B4: BF0A4252
	s_cselect_b32 s20, s36, s60                                // 00000000A7B8: 85143C24
	v_readlane_b32 s82, v3, 9                                  // 00000000A7BC: D2890052 00011303
	s_and_b32 s82, s82, 0xffffff                               // 00000000A7C4: 8652FF52 00FFFFFF
	s_cmp_lt_u32 s82, s66                                      // 00000000A7CC: BF0A4252
	s_cselect_b32 s21, s36, s60                                // 00000000A7D0: 85153C24
	s_mov_b64 exec, s[20:21]                                   // 00000000A7D4: BEFE0114
	global_atomic_add_f32 v6, v78, s[8:9] offset:8             // 00000000A7D8: DD348008 00084E06
	global_atomic_add_f32 v6, v82, s[8:9] offset:264           // 00000000A7E0: DD348108 00085206
	s_mov_b64 exec, s[36:37]                                   // 00000000A7E8: BEFE0124
	v_mov_b32_e32 v6, v53                                      // 00000000A7EC: 7E0C0335
	s_mov_b64 s[60:61], 0                                      // 00000000A7F0: BEBC0180
	v_readlane_b32 s82, v3, 10                                 // 00000000A7F4: D2890052 00011503
	s_and_b32 s82, s82, 0xffffff                               // 00000000A7FC: 8652FF52 00FFFFFF
	s_cmp_lt_u32 s82, s66                                      // 00000000A804: BF0A4252
	s_cselect_b32 s20, s36, s60                                // 00000000A808: 85143C24
	v_readlane_b32 s82, v3, 11                                 // 00000000A80C: D2890052 00011703
	s_and_b32 s82, s82, 0xffffff                               // 00000000A814: 8652FF52 00FFFFFF
	s_cmp_lt_u32 s82, s66                                      // 00000000A81C: BF0A4252
	s_cselect_b32 s21, s36, s60                                // 00000000A820: 85153C24
	s_mov_b64 exec, s[20:21]                                   // 00000000A824: BEFE0114
	global_atomic_add_f32 v6, v79, s[8:9] offset:8             // 00000000A828: DD348008 00084F06
	global_atomic_add_f32 v6, v83, s[8:9] offset:264           // 00000000A830: DD348108 00085306
	s_mov_b64 exec, s[36:37]                                   // 00000000A838: BEFE0124
	v_mov_b32_e32 v6, v54                                      // 00000000A83C: 7E0C0336
	s_mov_b64 s[60:61], 0                                      // 00000000A840: BEBC0180
	v_readlane_b32 s82, v3, 12                                 // 00000000A844: D2890052 00011903
	s_and_b32 s82, s82, 0xffffff                               // 00000000A84C: 8652FF52 00FFFFFF
	s_cmp_lt_u32 s82, s66                                      // 00000000A854: BF0A4252
	s_cselect_b32 s20, s36, s60                                // 00000000A858: 85143C24
	v_readlane_b32 s82, v3, 13                                 // 00000000A85C: D2890052 00011B03
	s_and_b32 s82, s82, 0xffffff                               // 00000000A864: 8652FF52 00FFFFFF
	s_cmp_lt_u32 s82, s66                                      // 00000000A86C: BF0A4252
	s_cselect_b32 s21, s36, s60                                // 00000000A870: 85153C24
	s_mov_b64 exec, s[20:21]                                   // 00000000A874: BEFE0114
	global_atomic_add_f32 v6, v86, s[8:9] offset:8             // 00000000A878: DD348008 00085606
	global_atomic_add_f32 v6, v90, s[8:9] offset:264           // 00000000A880: DD348108 00085A06
	s_mov_b64 exec, s[36:37]                                   // 00000000A888: BEFE0124
	v_mov_b32_e32 v6, v55                                      // 00000000A88C: 7E0C0337
	s_mov_b64 s[60:61], 0                                      // 00000000A890: BEBC0180
	v_readlane_b32 s82, v3, 14                                 // 00000000A894: D2890052 00011D03
	s_and_b32 s82, s82, 0xffffff                               // 00000000A89C: 8652FF52 00FFFFFF
	s_cmp_lt_u32 s82, s66                                      // 00000000A8A4: BF0A4252
	s_cselect_b32 s20, s36, s60                                // 00000000A8A8: 85143C24
	v_readlane_b32 s82, v3, 15                                 // 00000000A8AC: D2890052 00011F03
	s_and_b32 s82, s82, 0xffffff                               // 00000000A8B4: 8652FF52 00FFFFFF
	s_cmp_lt_u32 s82, s66                                      // 00000000A8BC: BF0A4252
	s_cselect_b32 s21, s36, s60                                // 00000000A8C0: 85153C24
	s_mov_b64 exec, s[20:21]                                   // 00000000A8C4: BEFE0114
	global_atomic_add_f32 v6, v87, s[8:9] offset:8             // 00000000A8C8: DD348008 00085706
	global_atomic_add_f32 v6, v91, s[8:9] offset:264           // 00000000A8D0: DD348108 00085B06
	s_mov_b64 exec, s[36:37]                                   // 00000000A8D8: BEFE0124
	v_mov_b32_e32 v6, v56                                      // 00000000A8DC: 7E0C0338
	s_mov_b64 s[60:61], 0                                      // 00000000A8E0: BEBC0180
	v_readlane_b32 s82, v3, 16                                 // 00000000A8E4: D2890052 00012103
	s_and_b32 s82, s82, 0xffffff                               // 00000000A8EC: 8652FF52 00FFFFFF
	s_cmp_lt_u32 s82, s66                                      // 00000000A8F4: BF0A4252
	s_cselect_b32 s20, s36, s60                                // 00000000A8F8: 85143C24
	v_readlane_b32 s82, v3, 17                                 // 00000000A8FC: D2890052 00012303
	s_and_b32 s82, s82, 0xffffff                               // 00000000A904: 8652FF52 00FFFFFF
	s_cmp_lt_u32 s82, s66                                      // 00000000A90C: BF0A4252
	s_cselect_b32 s21, s36, s60                                // 00000000A910: 85153C24
	s_mov_b64 exec, s[20:21]                                   // 00000000A914: BEFE0114
	global_atomic_add_f32 v6, v94, s[8:9] offset:8             // 00000000A918: DD348008 00085E06
	global_atomic_add_f32 v6, v98, s[8:9] offset:264           // 00000000A920: DD348108 00086206
	s_mov_b64 exec, s[36:37]                                   // 00000000A928: BEFE0124
	v_mov_b32_e32 v6, v57                                      // 00000000A92C: 7E0C0339
	s_mov_b64 s[60:61], 0                                      // 00000000A930: BEBC0180
	v_readlane_b32 s82, v3, 18                                 // 00000000A934: D2890052 00012503
	s_and_b32 s82, s82, 0xffffff                               // 00000000A93C: 8652FF52 00FFFFFF
	s_cmp_lt_u32 s82, s66                                      // 00000000A944: BF0A4252
	s_cselect_b32 s20, s36, s60                                // 00000000A948: 85143C24
	v_readlane_b32 s82, v3, 19                                 // 00000000A94C: D2890052 00012703
	s_and_b32 s82, s82, 0xffffff                               // 00000000A954: 8652FF52 00FFFFFF
	s_cmp_lt_u32 s82, s66                                      // 00000000A95C: BF0A4252
	s_cselect_b32 s21, s36, s60                                // 00000000A960: 85153C24
	s_mov_b64 exec, s[20:21]                                   // 00000000A964: BEFE0114
	global_atomic_add_f32 v6, v95, s[8:9] offset:8             // 00000000A968: DD348008 00085F06
	global_atomic_add_f32 v6, v99, s[8:9] offset:264           // 00000000A970: DD348108 00086306
	s_mov_b64 exec, s[36:37]                                   // 00000000A978: BEFE0124
	ds_write_b64 v20, v[100:101]                               // 00000000A97C: D89A0000 00006414
	ds_write_b64 v20, v[104:105] offset:4352                   // 00000000A984: D89A1100 00006814
	ds_write_b64 v20, v[108:109] offset:8704                   // 00000000A98C: D89A2200 00006C14
	ds_write_b64 v20, v[112:113] offset:13056                  // 00000000A994: D89A3300 00007014
	ds_write_b64 v20, v[116:117] offset:17408                  // 00000000A99C: D89A4400 00007414
	ds_write_b64 v20, v[120:121] offset:2176                   // 00000000A9A4: D89A0880 00007814
	ds_write_b64 v20, v[124:125] offset:6528                   // 00000000A9AC: D89A1980 00007C14
	ds_write_b64 v20, v[128:129] offset:10880                  // 00000000A9B4: D89A2A80 00008014
	ds_write_b64 v20, v[132:133] offset:15232                  // 00000000A9BC: D89A3B80 00008414
	ds_write_b64 v20, v[136:137] offset:19584                  // 00000000A9C4: D89A4C80 00008814
	s_waitcnt lgkmcnt(0)                                       // 00000000A9CC: BF8CC07F
	s_barrier                                                  // 00000000A9D0: BF8A0000
	ds_read_b32 v100, v21                                      // 00000000A9D4: D86C0000 64000015
	ds_read_b32 v101, v21 offset:64                            // 00000000A9DC: D86C0040 65000015
	ds_read_b32 v104, v21 offset:2176                          // 00000000A9E4: D86C0880 68000015
	ds_read_b32 v105, v21 offset:2240                          // 00000000A9EC: D86C08C0 69000015
	ds_read_b32 v108, v21 offset:4352                          // 00000000A9F4: D86C1100 6C000015
	ds_read_b32 v109, v21 offset:4416                          // 00000000A9FC: D86C1140 6D000015
	ds_read_b32 v112, v21 offset:6528                          // 00000000AA04: D86C1980 70000015
	ds_read_b32 v113, v21 offset:6592                          // 00000000AA0C: D86C19C0 71000015
	ds_read_b32 v116, v21 offset:8704                          // 00000000AA14: D86C2200 74000015
	ds_read_b32 v117, v21 offset:8768                          // 00000000AA1C: D86C2240 75000015
	ds_read_b32 v120, v21 offset:10880                         // 00000000AA24: D86C2A80 78000015
	ds_read_b32 v121, v21 offset:10944                         // 00000000AA2C: D86C2AC0 79000015
	ds_read_b32 v124, v21 offset:13056                         // 00000000AA34: D86C3300 7C000015
	ds_read_b32 v125, v21 offset:13120                         // 00000000AA3C: D86C3340 7D000015
	ds_read_b32 v128, v21 offset:15232                         // 00000000AA44: D86C3B80 80000015
	ds_read_b32 v129, v21 offset:15296                         // 00000000AA4C: D86C3BC0 81000015
	ds_read_b32 v132, v21 offset:17408                         // 00000000AA54: D86C4400 84000015
	ds_read_b32 v133, v21 offset:17472                         // 00000000AA5C: D86C4440 85000015
	ds_read_b32 v136, v21 offset:19584                         // 00000000AA64: D86C4C80 88000015
	ds_read_b32 v137, v21 offset:19648                         // 00000000AA6C: D86C4CC0 89000015
	s_mul_i32 s60, s65, 4                                      // 00000000AA74: 923C8441
	s_add_u32 s8, s60, s8                                      // 00000000AA78: 8008083C
	s_addc_u32 s9, 0, s9                                       // 00000000AA7C: 82090980
	s_waitcnt lgkmcnt(0)                                       // 00000000AA80: BF8CC07F
	v_mov_b32_e32 v7, 0                                        // 00000000AA84: 7E0E0280
	s_mov_b64 exec, s[36:37]                                   // 00000000AA88: BEFE0124
	v_mov_b32_e32 v6, v48                                      // 00000000AA8C: 7E0C0330
	s_mov_b64 s[60:61], 0                                      // 00000000AA90: BEBC0180
	v_readlane_b32 s82, v3, 0                                  // 00000000AA94: D2890052 00010103
	s_and_b32 s82, s82, 0xffffff                               // 00000000AA9C: 8652FF52 00FFFFFF
	s_cmp_lt_u32 s82, s66                                      // 00000000AAA4: BF0A4252
	s_cselect_b32 s20, s36, s60                                // 00000000AAA8: 85143C24
	v_readlane_b32 s82, v3, 1                                  // 00000000AAAC: D2890052 00010303
	s_and_b32 s82, s82, 0xffffff                               // 00000000AAB4: 8652FF52 00FFFFFF
	s_cmp_lt_u32 s82, s66                                      // 00000000AABC: BF0A4252
	s_cselect_b32 s21, s36, s60                                // 00000000AAC0: 85153C24
	s_mov_b64 exec, s[20:21]                                   // 00000000AAC4: BEFE0114
	global_atomic_add_f32 v6, v100, s[8:9]                     // 00000000AAC8: DD348000 00086406
	global_atomic_add_f32 v6, v104, s[8:9] offset:256          // 00000000AAD0: DD348100 00086806
	s_mov_b64 exec, s[36:37]                                   // 00000000AAD8: BEFE0124
	v_mov_b32_e32 v6, v49                                      // 00000000AADC: 7E0C0331
	s_mov_b64 s[60:61], 0                                      // 00000000AAE0: BEBC0180
	v_readlane_b32 s82, v3, 2                                  // 00000000AAE4: D2890052 00010503
	s_and_b32 s82, s82, 0xffffff                               // 00000000AAEC: 8652FF52 00FFFFFF
	s_cmp_lt_u32 s82, s66                                      // 00000000AAF4: BF0A4252
	s_cselect_b32 s20, s36, s60                                // 00000000AAF8: 85143C24
	v_readlane_b32 s82, v3, 3                                  // 00000000AAFC: D2890052 00010703
	s_and_b32 s82, s82, 0xffffff                               // 00000000AB04: 8652FF52 00FFFFFF
	s_cmp_lt_u32 s82, s66                                      // 00000000AB0C: BF0A4252
	s_cselect_b32 s21, s36, s60                                // 00000000AB10: 85153C24
	s_mov_b64 exec, s[20:21]                                   // 00000000AB14: BEFE0114
	global_atomic_add_f32 v6, v101, s[8:9]                     // 00000000AB18: DD348000 00086506
	global_atomic_add_f32 v6, v105, s[8:9] offset:256          // 00000000AB20: DD348100 00086906
	s_mov_b64 exec, s[36:37]                                   // 00000000AB28: BEFE0124
	v_mov_b32_e32 v6, v50                                      // 00000000AB2C: 7E0C0332
	s_mov_b64 s[60:61], 0                                      // 00000000AB30: BEBC0180
	v_readlane_b32 s82, v3, 4                                  // 00000000AB34: D2890052 00010903
	s_and_b32 s82, s82, 0xffffff                               // 00000000AB3C: 8652FF52 00FFFFFF
	s_cmp_lt_u32 s82, s66                                      // 00000000AB44: BF0A4252
	s_cselect_b32 s20, s36, s60                                // 00000000AB48: 85143C24
	v_readlane_b32 s82, v3, 5                                  // 00000000AB4C: D2890052 00010B03
	s_and_b32 s82, s82, 0xffffff                               // 00000000AB54: 8652FF52 00FFFFFF
	s_cmp_lt_u32 s82, s66                                      // 00000000AB5C: BF0A4252
	s_cselect_b32 s21, s36, s60                                // 00000000AB60: 85153C24
	s_mov_b64 exec, s[20:21]                                   // 00000000AB64: BEFE0114
	global_atomic_add_f32 v6, v108, s[8:9]                     // 00000000AB68: DD348000 00086C06
	global_atomic_add_f32 v6, v112, s[8:9] offset:256          // 00000000AB70: DD348100 00087006
	s_mov_b64 exec, s[36:37]                                   // 00000000AB78: BEFE0124
	v_mov_b32_e32 v6, v51                                      // 00000000AB7C: 7E0C0333
	s_mov_b64 s[60:61], 0                                      // 00000000AB80: BEBC0180
	v_readlane_b32 s82, v3, 6                                  // 00000000AB84: D2890052 00010D03
	s_and_b32 s82, s82, 0xffffff                               // 00000000AB8C: 8652FF52 00FFFFFF
	s_cmp_lt_u32 s82, s66                                      // 00000000AB94: BF0A4252
	s_cselect_b32 s20, s36, s60                                // 00000000AB98: 85143C24
	v_readlane_b32 s82, v3, 7                                  // 00000000AB9C: D2890052 00010F03
	s_and_b32 s82, s82, 0xffffff                               // 00000000ABA4: 8652FF52 00FFFFFF
	s_cmp_lt_u32 s82, s66                                      // 00000000ABAC: BF0A4252
	s_cselect_b32 s21, s36, s60                                // 00000000ABB0: 85153C24
	s_mov_b64 exec, s[20:21]                                   // 00000000ABB4: BEFE0114
	global_atomic_add_f32 v6, v109, s[8:9]                     // 00000000ABB8: DD348000 00086D06
	global_atomic_add_f32 v6, v113, s[8:9] offset:256          // 00000000ABC0: DD348100 00087106
	s_mov_b64 exec, s[36:37]                                   // 00000000ABC8: BEFE0124
	v_mov_b32_e32 v6, v52                                      // 00000000ABCC: 7E0C0334
	s_mov_b64 s[60:61], 0                                      // 00000000ABD0: BEBC0180
	v_readlane_b32 s82, v3, 8                                  // 00000000ABD4: D2890052 00011103
	s_and_b32 s82, s82, 0xffffff                               // 00000000ABDC: 8652FF52 00FFFFFF
	s_cmp_lt_u32 s82, s66                                      // 00000000ABE4: BF0A4252
	s_cselect_b32 s20, s36, s60                                // 00000000ABE8: 85143C24
	v_readlane_b32 s82, v3, 9                                  // 00000000ABEC: D2890052 00011303
	s_and_b32 s82, s82, 0xffffff                               // 00000000ABF4: 8652FF52 00FFFFFF
	s_cmp_lt_u32 s82, s66                                      // 00000000ABFC: BF0A4252
	s_cselect_b32 s21, s36, s60                                // 00000000AC00: 85153C24
	s_mov_b64 exec, s[20:21]                                   // 00000000AC04: BEFE0114
	global_atomic_add_f32 v6, v116, s[8:9]                     // 00000000AC08: DD348000 00087406
	global_atomic_add_f32 v6, v120, s[8:9] offset:256          // 00000000AC10: DD348100 00087806
	s_mov_b64 exec, s[36:37]                                   // 00000000AC18: BEFE0124
	v_mov_b32_e32 v6, v53                                      // 00000000AC1C: 7E0C0335
	s_mov_b64 s[60:61], 0                                      // 00000000AC20: BEBC0180
	v_readlane_b32 s82, v3, 10                                 // 00000000AC24: D2890052 00011503
	s_and_b32 s82, s82, 0xffffff                               // 00000000AC2C: 8652FF52 00FFFFFF
	s_cmp_lt_u32 s82, s66                                      // 00000000AC34: BF0A4252
	s_cselect_b32 s20, s36, s60                                // 00000000AC38: 85143C24
	v_readlane_b32 s82, v3, 11                                 // 00000000AC3C: D2890052 00011703
	s_and_b32 s82, s82, 0xffffff                               // 00000000AC44: 8652FF52 00FFFFFF
	s_cmp_lt_u32 s82, s66                                      // 00000000AC4C: BF0A4252
	s_cselect_b32 s21, s36, s60                                // 00000000AC50: 85153C24
	s_mov_b64 exec, s[20:21]                                   // 00000000AC54: BEFE0114
	global_atomic_add_f32 v6, v117, s[8:9]                     // 00000000AC58: DD348000 00087506
	global_atomic_add_f32 v6, v121, s[8:9] offset:256          // 00000000AC60: DD348100 00087906
	s_mov_b64 exec, s[36:37]                                   // 00000000AC68: BEFE0124
	v_mov_b32_e32 v6, v54                                      // 00000000AC6C: 7E0C0336
	s_mov_b64 s[60:61], 0                                      // 00000000AC70: BEBC0180
	v_readlane_b32 s82, v3, 12                                 // 00000000AC74: D2890052 00011903
	s_and_b32 s82, s82, 0xffffff                               // 00000000AC7C: 8652FF52 00FFFFFF
	s_cmp_lt_u32 s82, s66                                      // 00000000AC84: BF0A4252
	s_cselect_b32 s20, s36, s60                                // 00000000AC88: 85143C24
	v_readlane_b32 s82, v3, 13                                 // 00000000AC8C: D2890052 00011B03
	s_and_b32 s82, s82, 0xffffff                               // 00000000AC94: 8652FF52 00FFFFFF
	s_cmp_lt_u32 s82, s66                                      // 00000000AC9C: BF0A4252
	s_cselect_b32 s21, s36, s60                                // 00000000ACA0: 85153C24
	s_mov_b64 exec, s[20:21]                                   // 00000000ACA4: BEFE0114
	global_atomic_add_f32 v6, v124, s[8:9]                     // 00000000ACA8: DD348000 00087C06
	global_atomic_add_f32 v6, v128, s[8:9] offset:256          // 00000000ACB0: DD348100 00088006
	s_mov_b64 exec, s[36:37]                                   // 00000000ACB8: BEFE0124
	v_mov_b32_e32 v6, v55                                      // 00000000ACBC: 7E0C0337
	s_mov_b64 s[60:61], 0                                      // 00000000ACC0: BEBC0180
	v_readlane_b32 s82, v3, 14                                 // 00000000ACC4: D2890052 00011D03
	s_and_b32 s82, s82, 0xffffff                               // 00000000ACCC: 8652FF52 00FFFFFF
	s_cmp_lt_u32 s82, s66                                      // 00000000ACD4: BF0A4252
	s_cselect_b32 s20, s36, s60                                // 00000000ACD8: 85143C24
	v_readlane_b32 s82, v3, 15                                 // 00000000ACDC: D2890052 00011F03
	s_and_b32 s82, s82, 0xffffff                               // 00000000ACE4: 8652FF52 00FFFFFF
	s_cmp_lt_u32 s82, s66                                      // 00000000ACEC: BF0A4252
	s_cselect_b32 s21, s36, s60                                // 00000000ACF0: 85153C24
	s_mov_b64 exec, s[20:21]                                   // 00000000ACF4: BEFE0114
	global_atomic_add_f32 v6, v125, s[8:9]                     // 00000000ACF8: DD348000 00087D06
	global_atomic_add_f32 v6, v129, s[8:9] offset:256          // 00000000AD00: DD348100 00088106
	s_mov_b64 exec, s[36:37]                                   // 00000000AD08: BEFE0124
	v_mov_b32_e32 v6, v56                                      // 00000000AD0C: 7E0C0338
	s_mov_b64 s[60:61], 0                                      // 00000000AD10: BEBC0180
	v_readlane_b32 s82, v3, 16                                 // 00000000AD14: D2890052 00012103
	s_and_b32 s82, s82, 0xffffff                               // 00000000AD1C: 8652FF52 00FFFFFF
	s_cmp_lt_u32 s82, s66                                      // 00000000AD24: BF0A4252
	s_cselect_b32 s20, s36, s60                                // 00000000AD28: 85143C24
	v_readlane_b32 s82, v3, 17                                 // 00000000AD2C: D2890052 00012303
	s_and_b32 s82, s82, 0xffffff                               // 00000000AD34: 8652FF52 00FFFFFF
	s_cmp_lt_u32 s82, s66                                      // 00000000AD3C: BF0A4252
	s_cselect_b32 s21, s36, s60                                // 00000000AD40: 85153C24
	s_mov_b64 exec, s[20:21]                                   // 00000000AD44: BEFE0114
	global_atomic_add_f32 v6, v132, s[8:9]                     // 00000000AD48: DD348000 00088406
	global_atomic_add_f32 v6, v136, s[8:9] offset:256          // 00000000AD50: DD348100 00088806
	s_mov_b64 exec, s[36:37]                                   // 00000000AD58: BEFE0124
	v_mov_b32_e32 v6, v57                                      // 00000000AD5C: 7E0C0339
	s_mov_b64 s[60:61], 0                                      // 00000000AD60: BEBC0180
	v_readlane_b32 s82, v3, 18                                 // 00000000AD64: D2890052 00012503
	s_and_b32 s82, s82, 0xffffff                               // 00000000AD6C: 8652FF52 00FFFFFF
	s_cmp_lt_u32 s82, s66                                      // 00000000AD74: BF0A4252
	s_cselect_b32 s20, s36, s60                                // 00000000AD78: 85143C24
	v_readlane_b32 s82, v3, 19                                 // 00000000AD7C: D2890052 00012703
	s_and_b32 s82, s82, 0xffffff                               // 00000000AD84: 8652FF52 00FFFFFF
	s_cmp_lt_u32 s82, s66                                      // 00000000AD8C: BF0A4252
	s_cselect_b32 s21, s36, s60                                // 00000000AD90: 85153C24
	s_mov_b64 exec, s[20:21]                                   // 00000000AD94: BEFE0114
	global_atomic_add_f32 v6, v133, s[8:9]                     // 00000000AD98: DD348000 00088506
	global_atomic_add_f32 v6, v137, s[8:9] offset:256          // 00000000ADA0: DD348100 00088906
	s_mov_b64 exec, s[36:37]                                   // 00000000ADA8: BEFE0124
	ds_write_b64 v20, v[102:103]                               // 00000000ADAC: D89A0000 00006614
	ds_write_b64 v20, v[106:107] offset:4352                   // 00000000ADB4: D89A1100 00006A14
	ds_write_b64 v20, v[110:111] offset:8704                   // 00000000ADBC: D89A2200 00006E14
	ds_write_b64 v20, v[114:115] offset:13056                  // 00000000ADC4: D89A3300 00007214
	ds_write_b64 v20, v[118:119] offset:17408                  // 00000000ADCC: D89A4400 00007614
	ds_write_b64 v20, v[122:123] offset:2176                   // 00000000ADD4: D89A0880 00007A14
	ds_write_b64 v20, v[126:127] offset:6528                   // 00000000ADDC: D89A1980 00007E14
	ds_write_b64 v20, v[130:131] offset:10880                  // 00000000ADE4: D89A2A80 00008214
	ds_write_b64 v20, v[134:135] offset:15232                  // 00000000ADEC: D89A3B80 00008614
	ds_write_b64 v20, v[138:139] offset:19584                  // 00000000ADF4: D89A4C80 00008A14
	s_waitcnt lgkmcnt(0)                                       // 00000000ADFC: BF8CC07F
	s_barrier                                                  // 00000000AE00: BF8A0000
	ds_read_b32 v102, v21                                      // 00000000AE04: D86C0000 66000015
	ds_read_b32 v103, v21 offset:64                            // 00000000AE0C: D86C0040 67000015
	ds_read_b32 v106, v21 offset:2176                          // 00000000AE14: D86C0880 6A000015
	ds_read_b32 v107, v21 offset:2240                          // 00000000AE1C: D86C08C0 6B000015
	ds_read_b32 v110, v21 offset:4352                          // 00000000AE24: D86C1100 6E000015
	ds_read_b32 v111, v21 offset:4416                          // 00000000AE2C: D86C1140 6F000015
	ds_read_b32 v114, v21 offset:6528                          // 00000000AE34: D86C1980 72000015
	ds_read_b32 v115, v21 offset:6592                          // 00000000AE3C: D86C19C0 73000015
	ds_read_b32 v118, v21 offset:8704                          // 00000000AE44: D86C2200 76000015
	ds_read_b32 v119, v21 offset:8768                          // 00000000AE4C: D86C2240 77000015
	ds_read_b32 v122, v21 offset:10880                         // 00000000AE54: D86C2A80 7A000015
	ds_read_b32 v123, v21 offset:10944                         // 00000000AE5C: D86C2AC0 7B000015
	ds_read_b32 v126, v21 offset:13056                         // 00000000AE64: D86C3300 7E000015
	ds_read_b32 v127, v21 offset:13120                         // 00000000AE6C: D86C3340 7F000015
	ds_read_b32 v130, v21 offset:15232                         // 00000000AE74: D86C3B80 82000015
	ds_read_b32 v131, v21 offset:15296                         // 00000000AE7C: D86C3BC0 83000015
	ds_read_b32 v134, v21 offset:17408                         // 00000000AE84: D86C4400 86000015
	ds_read_b32 v135, v21 offset:17472                         // 00000000AE8C: D86C4440 87000015
	ds_read_b32 v138, v21 offset:19584                         // 00000000AE94: D86C4C80 8A000015
	ds_read_b32 v139, v21 offset:19648                         // 00000000AE9C: D86C4CC0 8B000015
	s_waitcnt lgkmcnt(0)                                       // 00000000AEA4: BF8CC07F
	v_mov_b32_e32 v7, 0                                        // 00000000AEA8: 7E0E0280
	s_mov_b64 exec, s[36:37]                                   // 00000000AEAC: BEFE0124
	v_mov_b32_e32 v6, v48                                      // 00000000AEB0: 7E0C0330
	s_mov_b64 s[60:61], 0                                      // 00000000AEB4: BEBC0180
	v_readlane_b32 s82, v3, 0                                  // 00000000AEB8: D2890052 00010103
	s_and_b32 s82, s82, 0xffffff                               // 00000000AEC0: 8652FF52 00FFFFFF
	s_cmp_lt_u32 s82, s66                                      // 00000000AEC8: BF0A4252
	s_cselect_b32 s20, s36, s60                                // 00000000AECC: 85143C24
	v_readlane_b32 s82, v3, 1                                  // 00000000AED0: D2890052 00010303
	s_and_b32 s82, s82, 0xffffff                               // 00000000AED8: 8652FF52 00FFFFFF
	s_cmp_lt_u32 s82, s66                                      // 00000000AEE0: BF0A4252
	s_cselect_b32 s21, s36, s60                                // 00000000AEE4: 85153C24
	s_mov_b64 exec, s[20:21]                                   // 00000000AEE8: BEFE0114
	global_atomic_add_f32 v6, v102, s[8:9] offset:8            // 00000000AEEC: DD348008 00086606
	global_atomic_add_f32 v6, v106, s[8:9] offset:264          // 00000000AEF4: DD348108 00086A06
	s_mov_b64 exec, s[36:37]                                   // 00000000AEFC: BEFE0124
	v_mov_b32_e32 v6, v49                                      // 00000000AF00: 7E0C0331
	s_mov_b64 s[60:61], 0                                      // 00000000AF04: BEBC0180
	v_readlane_b32 s82, v3, 2                                  // 00000000AF08: D2890052 00010503
	s_and_b32 s82, s82, 0xffffff                               // 00000000AF10: 8652FF52 00FFFFFF
	s_cmp_lt_u32 s82, s66                                      // 00000000AF18: BF0A4252
	s_cselect_b32 s20, s36, s60                                // 00000000AF1C: 85143C24
	v_readlane_b32 s82, v3, 3                                  // 00000000AF20: D2890052 00010703
	s_and_b32 s82, s82, 0xffffff                               // 00000000AF28: 8652FF52 00FFFFFF
	s_cmp_lt_u32 s82, s66                                      // 00000000AF30: BF0A4252
	s_cselect_b32 s21, s36, s60                                // 00000000AF34: 85153C24
	s_mov_b64 exec, s[20:21]                                   // 00000000AF38: BEFE0114
	global_atomic_add_f32 v6, v103, s[8:9] offset:8            // 00000000AF3C: DD348008 00086706
	global_atomic_add_f32 v6, v107, s[8:9] offset:264          // 00000000AF44: DD348108 00086B06
	s_mov_b64 exec, s[36:37]                                   // 00000000AF4C: BEFE0124
	v_mov_b32_e32 v6, v50                                      // 00000000AF50: 7E0C0332
	s_mov_b64 s[60:61], 0                                      // 00000000AF54: BEBC0180
	v_readlane_b32 s82, v3, 4                                  // 00000000AF58: D2890052 00010903
	s_and_b32 s82, s82, 0xffffff                               // 00000000AF60: 8652FF52 00FFFFFF
	s_cmp_lt_u32 s82, s66                                      // 00000000AF68: BF0A4252
	s_cselect_b32 s20, s36, s60                                // 00000000AF6C: 85143C24
	v_readlane_b32 s82, v3, 5                                  // 00000000AF70: D2890052 00010B03
	s_and_b32 s82, s82, 0xffffff                               // 00000000AF78: 8652FF52 00FFFFFF
	s_cmp_lt_u32 s82, s66                                      // 00000000AF80: BF0A4252
	s_cselect_b32 s21, s36, s60                                // 00000000AF84: 85153C24
	s_mov_b64 exec, s[20:21]                                   // 00000000AF88: BEFE0114
	global_atomic_add_f32 v6, v110, s[8:9] offset:8            // 00000000AF8C: DD348008 00086E06
	global_atomic_add_f32 v6, v114, s[8:9] offset:264          // 00000000AF94: DD348108 00087206
	s_mov_b64 exec, s[36:37]                                   // 00000000AF9C: BEFE0124
	v_mov_b32_e32 v6, v51                                      // 00000000AFA0: 7E0C0333
	s_mov_b64 s[60:61], 0                                      // 00000000AFA4: BEBC0180
	v_readlane_b32 s82, v3, 6                                  // 00000000AFA8: D2890052 00010D03
	s_and_b32 s82, s82, 0xffffff                               // 00000000AFB0: 8652FF52 00FFFFFF
	s_cmp_lt_u32 s82, s66                                      // 00000000AFB8: BF0A4252
	s_cselect_b32 s20, s36, s60                                // 00000000AFBC: 85143C24
	v_readlane_b32 s82, v3, 7                                  // 00000000AFC0: D2890052 00010F03
	s_and_b32 s82, s82, 0xffffff                               // 00000000AFC8: 8652FF52 00FFFFFF
	s_cmp_lt_u32 s82, s66                                      // 00000000AFD0: BF0A4252
	s_cselect_b32 s21, s36, s60                                // 00000000AFD4: 85153C24
	s_mov_b64 exec, s[20:21]                                   // 00000000AFD8: BEFE0114
	global_atomic_add_f32 v6, v111, s[8:9] offset:8            // 00000000AFDC: DD348008 00086F06
	global_atomic_add_f32 v6, v115, s[8:9] offset:264          // 00000000AFE4: DD348108 00087306
	s_mov_b64 exec, s[36:37]                                   // 00000000AFEC: BEFE0124
	v_mov_b32_e32 v6, v52                                      // 00000000AFF0: 7E0C0334
	s_mov_b64 s[60:61], 0                                      // 00000000AFF4: BEBC0180
	v_readlane_b32 s82, v3, 8                                  // 00000000AFF8: D2890052 00011103
	s_and_b32 s82, s82, 0xffffff                               // 00000000B000: 8652FF52 00FFFFFF
	s_cmp_lt_u32 s82, s66                                      // 00000000B008: BF0A4252
	s_cselect_b32 s20, s36, s60                                // 00000000B00C: 85143C24
	v_readlane_b32 s82, v3, 9                                  // 00000000B010: D2890052 00011303
	s_and_b32 s82, s82, 0xffffff                               // 00000000B018: 8652FF52 00FFFFFF
	s_cmp_lt_u32 s82, s66                                      // 00000000B020: BF0A4252
	s_cselect_b32 s21, s36, s60                                // 00000000B024: 85153C24
	s_mov_b64 exec, s[20:21]                                   // 00000000B028: BEFE0114
	global_atomic_add_f32 v6, v118, s[8:9] offset:8            // 00000000B02C: DD348008 00087606
	global_atomic_add_f32 v6, v122, s[8:9] offset:264          // 00000000B034: DD348108 00087A06
	s_mov_b64 exec, s[36:37]                                   // 00000000B03C: BEFE0124
	v_mov_b32_e32 v6, v53                                      // 00000000B040: 7E0C0335
	s_mov_b64 s[60:61], 0                                      // 00000000B044: BEBC0180
	v_readlane_b32 s82, v3, 10                                 // 00000000B048: D2890052 00011503
	s_and_b32 s82, s82, 0xffffff                               // 00000000B050: 8652FF52 00FFFFFF
	s_cmp_lt_u32 s82, s66                                      // 00000000B058: BF0A4252
	s_cselect_b32 s20, s36, s60                                // 00000000B05C: 85143C24
	v_readlane_b32 s82, v3, 11                                 // 00000000B060: D2890052 00011703
	s_and_b32 s82, s82, 0xffffff                               // 00000000B068: 8652FF52 00FFFFFF
	s_cmp_lt_u32 s82, s66                                      // 00000000B070: BF0A4252
	s_cselect_b32 s21, s36, s60                                // 00000000B074: 85153C24
	s_mov_b64 exec, s[20:21]                                   // 00000000B078: BEFE0114
	global_atomic_add_f32 v6, v119, s[8:9] offset:8            // 00000000B07C: DD348008 00087706
	global_atomic_add_f32 v6, v123, s[8:9] offset:264          // 00000000B084: DD348108 00087B06
	s_mov_b64 exec, s[36:37]                                   // 00000000B08C: BEFE0124
	v_mov_b32_e32 v6, v54                                      // 00000000B090: 7E0C0336
	s_mov_b64 s[60:61], 0                                      // 00000000B094: BEBC0180
	v_readlane_b32 s82, v3, 12                                 // 00000000B098: D2890052 00011903
	s_and_b32 s82, s82, 0xffffff                               // 00000000B0A0: 8652FF52 00FFFFFF
	s_cmp_lt_u32 s82, s66                                      // 00000000B0A8: BF0A4252
	s_cselect_b32 s20, s36, s60                                // 00000000B0AC: 85143C24
	v_readlane_b32 s82, v3, 13                                 // 00000000B0B0: D2890052 00011B03
	s_and_b32 s82, s82, 0xffffff                               // 00000000B0B8: 8652FF52 00FFFFFF
	s_cmp_lt_u32 s82, s66                                      // 00000000B0C0: BF0A4252
	s_cselect_b32 s21, s36, s60                                // 00000000B0C4: 85153C24
	s_mov_b64 exec, s[20:21]                                   // 00000000B0C8: BEFE0114
	global_atomic_add_f32 v6, v126, s[8:9] offset:8            // 00000000B0CC: DD348008 00087E06
	global_atomic_add_f32 v6, v130, s[8:9] offset:264          // 00000000B0D4: DD348108 00088206
	s_mov_b64 exec, s[36:37]                                   // 00000000B0DC: BEFE0124
	v_mov_b32_e32 v6, v55                                      // 00000000B0E0: 7E0C0337
	s_mov_b64 s[60:61], 0                                      // 00000000B0E4: BEBC0180
	v_readlane_b32 s82, v3, 14                                 // 00000000B0E8: D2890052 00011D03
	s_and_b32 s82, s82, 0xffffff                               // 00000000B0F0: 8652FF52 00FFFFFF
	s_cmp_lt_u32 s82, s66                                      // 00000000B0F8: BF0A4252
	s_cselect_b32 s20, s36, s60                                // 00000000B0FC: 85143C24
	v_readlane_b32 s82, v3, 15                                 // 00000000B100: D2890052 00011F03
	s_and_b32 s82, s82, 0xffffff                               // 00000000B108: 8652FF52 00FFFFFF
	s_cmp_lt_u32 s82, s66                                      // 00000000B110: BF0A4252
	s_cselect_b32 s21, s36, s60                                // 00000000B114: 85153C24
	s_mov_b64 exec, s[20:21]                                   // 00000000B118: BEFE0114
	global_atomic_add_f32 v6, v127, s[8:9] offset:8            // 00000000B11C: DD348008 00087F06
	global_atomic_add_f32 v6, v131, s[8:9] offset:264          // 00000000B124: DD348108 00088306
	s_mov_b64 exec, s[36:37]                                   // 00000000B12C: BEFE0124
	v_mov_b32_e32 v6, v56                                      // 00000000B130: 7E0C0338
	s_mov_b64 s[60:61], 0                                      // 00000000B134: BEBC0180
	v_readlane_b32 s82, v3, 16                                 // 00000000B138: D2890052 00012103
	s_and_b32 s82, s82, 0xffffff                               // 00000000B140: 8652FF52 00FFFFFF
	s_cmp_lt_u32 s82, s66                                      // 00000000B148: BF0A4252
	s_cselect_b32 s20, s36, s60                                // 00000000B14C: 85143C24
	v_readlane_b32 s82, v3, 17                                 // 00000000B150: D2890052 00012303
	s_and_b32 s82, s82, 0xffffff                               // 00000000B158: 8652FF52 00FFFFFF
	s_cmp_lt_u32 s82, s66                                      // 00000000B160: BF0A4252
	s_cselect_b32 s21, s36, s60                                // 00000000B164: 85153C24
	s_mov_b64 exec, s[20:21]                                   // 00000000B168: BEFE0114
	global_atomic_add_f32 v6, v134, s[8:9] offset:8            // 00000000B16C: DD348008 00088606
	global_atomic_add_f32 v6, v138, s[8:9] offset:264          // 00000000B174: DD348108 00088A06
	s_mov_b64 exec, s[36:37]                                   // 00000000B17C: BEFE0124
	v_mov_b32_e32 v6, v57                                      // 00000000B180: 7E0C0339
	s_mov_b64 s[60:61], 0                                      // 00000000B184: BEBC0180
	v_readlane_b32 s82, v3, 18                                 // 00000000B188: D2890052 00012503
	s_and_b32 s82, s82, 0xffffff                               // 00000000B190: 8652FF52 00FFFFFF
	s_cmp_lt_u32 s82, s66                                      // 00000000B198: BF0A4252
	s_cselect_b32 s20, s36, s60                                // 00000000B19C: 85143C24
	v_readlane_b32 s82, v3, 19                                 // 00000000B1A0: D2890052 00012703
	s_and_b32 s82, s82, 0xffffff                               // 00000000B1A8: 8652FF52 00FFFFFF
	s_cmp_lt_u32 s82, s66                                      // 00000000B1B0: BF0A4252
	s_cselect_b32 s21, s36, s60                                // 00000000B1B4: 85153C24
	s_mov_b64 exec, s[20:21]                                   // 00000000B1B8: BEFE0114
	global_atomic_add_f32 v6, v135, s[8:9] offset:8            // 00000000B1BC: DD348008 00088706
	global_atomic_add_f32 v6, v139, s[8:9] offset:264          // 00000000B1C4: DD348108 00088B06
	s_mov_b64 exec, s[36:37]                                   // 00000000B1CC: BEFE0124
	s_branch label_21F8                                        // 00000000B1D0: BF820000

000000000000b1d4 <label_21F8>:
	s_waitcnt vmcnt(0) expcnt(0) lgkmcnt(0)                    // 00000000B1D4: BF8C0000
	s_endpgm                                                   // 00000000B1D8: BF810000
